;; amdgpu-corpus repo=triton-lang/triton kind=triton arch=gfx1100 opt=O3 lang=triton
	.amdgcn_target "amdgcn-amd-amdhsa--gfx1100"
	.amdhsa_code_object_version 5
	.text
	.globl	matmul_kernel_persistent        ; -- Begin function matmul_kernel_persistent
	.p2align	8
	.type	matmul_kernel_persistent,@function
matmul_kernel_persistent:               ; @matmul_kernel_persistent
.Lfunc_begin0:
	.file	1 "/root/src/amdgpu-assembly/repos/triton-lang__triton-aot" "persistent_matmul.py"
	.loc	1 19 0                          ; persistent_matmul.py:19:0
	.cfi_sections .debug_frame
	.cfi_startproc
; %bb.0:
	s_clause 0x2
	s_load_b128 s[4:7], s[0:1], 0x10
	s_load_b32 s23, s[0:1], 0x20
	s_load_b64 s[2:3], s[0:1], 0x34
.Ltmp0:
	.loc	1 40 35 prologue_end            ; persistent_matmul.py:40:35
	v_lshrrev_b32_e32 v177, 6, v0
	.loc	1 47 41                         ; persistent_matmul.py:47:41
	v_and_b32_e32 v209, 63, v0
	s_delay_alu instid0(VALU_DEP_2)
	.loc	1 40 35                         ; persistent_matmul.py:40:35
	v_or_b32_e32 v178, 2, v177
	v_or_b32_e32 v179, 4, v177
	;; [unrolled: 1-line block ×7, first 2 shown]
	.loc	1 47 41                         ; persistent_matmul.py:47:41
	v_or_b32_e32 v185, 16, v177
	v_or_b32_e32 v186, 18, v177
	;; [unrolled: 1-line block ×6, first 2 shown]
.Ltmp1:
	.file	2 "/root/.local/lib/python3.13/site-packages/triton/language" "standard.py"
	.loc	2 43 17                         ; standard.py:43:17 @[ persistent_matmul.py:31:27 ]
	s_waitcnt lgkmcnt(0)
	s_add_i32 s8, s6, 63
.Ltmp2:
	.loc	2 43 17 is_stmt 0               ; standard.py:43:17 @[ persistent_matmul.py:32:27 ]
	s_add_i32 s9, s7, 63
.Ltmp3:
	.loc	2 43 30                         ; standard.py:43:30 @[ persistent_matmul.py:31:27 ]
	s_ashr_i32 s10, s8, 31
.Ltmp4:
	.loc	2 43 30                         ; standard.py:43:30 @[ persistent_matmul.py:32:27 ]
	s_ashr_i32 s11, s9, 31
.Ltmp5:
	.loc	2 43 30                         ; standard.py:43:30 @[ persistent_matmul.py:31:27 ]
	s_lshr_b32 s10, s10, 26
.Ltmp6:
	.loc	2 43 30                         ; standard.py:43:30 @[ persistent_matmul.py:32:27 ]
	s_lshr_b32 s11, s11, 26
.Ltmp7:
	.loc	2 43 30                         ; standard.py:43:30 @[ persistent_matmul.py:31:27 ]
	s_add_i32 s8, s8, s10
.Ltmp8:
	.loc	2 43 30                         ; standard.py:43:30 @[ persistent_matmul.py:32:27 ]
	s_add_i32 s9, s9, s11
.Ltmp9:
	.loc	1 47 41 is_stmt 1               ; persistent_matmul.py:47:41
	v_or_b32_e32 v191, 28, v177
.Ltmp10:
	.loc	2 43 30                         ; standard.py:43:30 @[ persistent_matmul.py:31:27 ]
	s_ashr_i32 s14, s8, 6
.Ltmp11:
	.loc	2 43 30 is_stmt 0               ; standard.py:43:30 @[ persistent_matmul.py:32:27 ]
	s_ashr_i32 s8, s9, 6
.Ltmp12:
	.loc	1 47 41 is_stmt 1               ; persistent_matmul.py:47:41
	v_or_b32_e32 v192, 30, v177
	v_or_b32_e32 v193, 32, v177
	;; [unrolled: 1-line block ×17, first 2 shown]
	.loc	1 55 24                         ; persistent_matmul.py:55:24
	s_add_i32 s9, s23, 30
	.loc	1 41 38                         ; persistent_matmul.py:41:38
	s_lshl_b32 s17, s8, 3
	.loc	1 34 28                         ; persistent_matmul.py:34:28
	s_mul_i32 s16, s8, s14
	.loc	1 55 24                         ; persistent_matmul.py:55:24
	s_cmp_gt_u32 s9, 30
	s_mov_b32 s8, -1
	s_cbranch_scc0 .LBB0_207
; %bb.1:
	.loc	1 43 59                         ; persistent_matmul.py:43:59
	s_sub_i32 s8, s16, s15
.Ltmp13:
	.loc	2 43 17 is_stmt 0               ; standard.py:43:17 @[ persistent_matmul.py:33:25 ]
	s_add_i32 s9, s23, 15
.Ltmp14:
	.loc	1 43 59                         ; persistent_matmul.py:43:59
	s_mul_hi_i32 s10, s8, 0x4ec4ec4f
.Ltmp15:
	.loc	2 43 30                         ; standard.py:43:30 @[ persistent_matmul.py:33:25 ]
	s_ashr_i32 s11, s9, 31
.Ltmp16:
	.loc	1 43 59                         ; persistent_matmul.py:43:59
	s_lshr_b32 s12, s10, 31
	s_ashr_i32 s10, s10, 5
.Ltmp17:
	.loc	2 43 30                         ; standard.py:43:30 @[ persistent_matmul.py:33:25 ]
	s_lshr_b32 s11, s11, 28
.Ltmp18:
	.loc	1 43 59                         ; persistent_matmul.py:43:59
	s_add_i32 s13, s10, s12
.Ltmp19:
	.loc	2 43 30                         ; standard.py:43:30 @[ persistent_matmul.py:33:25 ]
	s_add_i32 s9, s9, s11
.Ltmp20:
	.loc	1 43 59                         ; persistent_matmul.py:43:59
	s_mulk_i32 s13, 0x68
.Ltmp21:
	.loc	2 43 30                         ; standard.py:43:30 @[ persistent_matmul.py:33:25 ]
	s_ashr_i32 s9, s9, 4
.Ltmp22:
	.loc	1 43 59                         ; persistent_matmul.py:43:59
	s_cmp_lg_u32 s8, s13
	.loc	1 47 41 is_stmt 1               ; persistent_matmul.py:47:41
	v_lshrrev_b32_e32 v217, 4, v0
	.loc	1 43 59                         ; persistent_matmul.py:43:59
	s_cselect_b32 s11, -1, 0
	s_cmp_gt_i32 s8, -1
	.loc	1 40 35                         ; persistent_matmul.py:40:35
	v_and_b32_e32 v216, 15, v0
	.loc	1 43 59                         ; persistent_matmul.py:43:59
	s_cselect_b32 s8, -1, 0
	v_mov_b32_e32 v2, 0
	s_and_b32 s8, s8, s11
	s_addc_u32 s26, s10, s12
	s_max_i32 s22, s9, 1
	s_delay_alu instid0(SALU_CYCLE_1) | instskip(NEXT) | instid1(SALU_CYCLE_1)
	s_mul_i32 s26, s26, s22
	s_cmp_gt_i32 s26, 0
	s_cselect_b32 s19, -1, 0
.Ltmp23:
	.loc	1 10 26                         ; persistent_matmul.py:10:26 @[ persistent_matmul.py:44:88 ]
	s_abs_i32 s18, s17
	s_abs_i32 s9, s15
	v_cvt_f32_u32_e32 v1, s18
	s_sub_i32 s8, 0, s18
	s_ashr_i32 s10, s15, 31
	s_ashr_i32 s20, s17, 31
	s_delay_alu instid0(VALU_DEP_1) | instskip(SKIP_3) | instid1(VALU_DEP_1)
	v_rcp_iflag_f32_e32 v1, v1
	s_xor_b32 s12, s10, s20
	s_waitcnt_depctr depctr_va_vdst(0)
	v_mul_f32_e32 v1, 0x4f7ffffe, v1
	v_cvt_u32_f32_e32 v1, v1
	s_delay_alu instid0(VALU_DEP_1) | instskip(SKIP_1) | instid1(SALU_CYCLE_1)
	v_readfirstlane_b32 s21, v1
	s_mul_i32 s8, s8, s21
	s_mul_hi_u32 s8, s21, s8
	s_delay_alu instid0(SALU_CYCLE_1) | instskip(NEXT) | instid1(SALU_CYCLE_1)
	s_add_i32 s21, s21, s8
	s_mul_hi_u32 s8, s9, s21
	s_delay_alu instid0(SALU_CYCLE_1) | instskip(SKIP_2) | instid1(SALU_CYCLE_1)
	s_mul_i32 s11, s8, s18
	s_add_i32 s13, s8, 1
	s_sub_i32 s11, s9, s11
	s_sub_i32 s24, s11, s18
	s_cmp_ge_u32 s11, s18
	s_cselect_b32 s8, s13, s8
	s_cselect_b32 s11, s24, s11
	s_add_i32 s13, s8, 1
	s_cmp_ge_u32 s11, s18
	s_cselect_b32 s8, s13, s8
	s_delay_alu instid0(SALU_CYCLE_1) | instskip(NEXT) | instid1(SALU_CYCLE_1)
	s_xor_b32 s8, s8, s12
	s_sub_i32 s13, s8, s12
	s_delay_alu instid0(SALU_CYCLE_1) | instskip(NEXT) | instid1(SALU_CYCLE_1)
	.loc	1 11 29                         ; persistent_matmul.py:11:29 @[ persistent_matmul.py:44:88 ]
	s_lshl_b32 s11, s13, 3
	.loc	1 12 35                         ; persistent_matmul.py:12:35 @[ persistent_matmul.py:44:88 ]
	s_sub_i32 s8, s14, s11
	s_delay_alu instid0(SALU_CYCLE_1) | instskip(NEXT) | instid1(SALU_CYCLE_1)
	.loc	1 12 48 is_stmt 0               ; persistent_matmul.py:12:48 @[ persistent_matmul.py:44:88 ]
	s_min_i32 s27, s8, 8
	.loc	1 13 37 is_stmt 1               ; persistent_matmul.py:13:37 @[ persistent_matmul.py:44:88 ]
	s_abs_i32 s25, s27
	s_delay_alu instid0(SALU_CYCLE_1) | instskip(SKIP_1) | instid1(VALU_DEP_1)
	v_cvt_f32_u32_e32 v1, s25
	s_sub_i32 s8, 0, s25
	v_rcp_iflag_f32_e32 v1, v1
	s_waitcnt_depctr depctr_va_vdst(0)
	v_mul_f32_e32 v1, 0x4f7ffffe, v1
	s_delay_alu instid0(VALU_DEP_1) | instskip(NEXT) | instid1(VALU_DEP_1)
	v_cvt_u32_f32_e32 v1, v1
	v_readfirstlane_b32 s12, v1
	s_mul_i32 s8, s8, s12
	s_delay_alu instid0(SALU_CYCLE_1) | instskip(NEXT) | instid1(SALU_CYCLE_1)
	s_mul_hi_u32 s8, s12, s8
	s_add_i32 s12, s12, s8
	s_delay_alu instid0(SALU_CYCLE_1) | instskip(NEXT) | instid1(SALU_CYCLE_1)
	s_mul_hi_u32 s8, s9, s12
	s_mul_i32 s8, s8, s25
	s_delay_alu instid0(SALU_CYCLE_1) | instskip(NEXT) | instid1(SALU_CYCLE_1)
	s_sub_i32 s8, s9, s8
	s_sub_i32 s9, s8, s25
	s_cmp_ge_u32 s8, s25
	s_cselect_b32 s8, s9, s8
	s_delay_alu instid0(SALU_CYCLE_1) | instskip(SKIP_4) | instid1(SALU_CYCLE_1)
	s_sub_i32 s9, s8, s25
	s_cmp_ge_u32 s8, s25
	s_cselect_b32 s24, s9, s8
	s_load_b64 s[8:9], s[0:1], 0x24
	s_xor_b32 s24, s24, s10
	s_sub_i32 s10, s24, s10
	s_delay_alu instid0(SALU_CYCLE_1) | instskip(NEXT) | instid1(SALU_CYCLE_1)
	.loc	1 13 27 is_stmt 0               ; persistent_matmul.py:13:27 @[ persistent_matmul.py:44:88 ]
	s_add_i32 s11, s11, s10
.Ltmp24:
	.loc	1 45 26 is_stmt 1               ; persistent_matmul.py:45:26
	s_lshl_b32 s28, s11, 6
	s_load_b64 s[10:11], s[0:1], 0x0
	.loc	1 47 28                         ; persistent_matmul.py:47:28
	v_or_b32_e32 v1, s28, v217
	s_delay_alu instid0(VALU_DEP_1) | instskip(SKIP_4) | instid1(VALU_DEP_3)
	.loc	1 49 37                         ; persistent_matmul.py:49:37
	v_cmp_gt_i32_e32 vcc_lo, s6, v1
	.loc	1 49 49 is_stmt 0               ; persistent_matmul.py:49:49
	v_cndmask_b32_e32 v1, 0, v1, vcc_lo
	.loc	1 57 79 is_stmt 1               ; persistent_matmul.py:57:79
	s_waitcnt lgkmcnt(0)
	v_mul_lo_u32 v9, s9, v216
	.loc	1 60 64                         ; persistent_matmul.py:60:64
	v_cmp_gt_i32_e32 vcc_lo, s23, v216
	.loc	1 57 49                         ; persistent_matmul.py:57:49
	v_mul_lo_u32 v221, v1, s8
	v_mov_b32_e32 v1, 0
	.loc	1 43 59                         ; persistent_matmul.py:43:59
	s_and_b32 s29, vcc_lo, s19
	s_delay_alu instid0(SALU_CYCLE_1)
	.loc	1 60 24                         ; persistent_matmul.py:60:24
	s_and_saveexec_b32 s24, s29
	s_cbranch_execz .LBB0_3
; %bb.2:
	.loc	1 0 24 is_stmt 0                ; persistent_matmul.py:0:24
	s_delay_alu instid0(VALU_DEP_2) | instskip(NEXT) | instid1(VALU_DEP_1)
	v_add_nc_u32_e32 v2, v221, v9
	v_ashrrev_i32_e32 v3, 31, v2
	s_delay_alu instid0(VALU_DEP_1) | instskip(NEXT) | instid1(VALU_DEP_1)
	v_lshlrev_b64 v[2:3], 2, v[2:3]
	v_add_co_u32 v2, vcc_lo, s10, v2
	s_delay_alu instid0(VALU_DEP_1)
	v_add_co_ci_u32_e64 v3, null, s11, v3, vcc_lo
	.loc	1 60 24                         ; persistent_matmul.py:60:24
	global_load_b32 v2, v[2:3], off
.LBB0_3:
	.loc	1 0 24                          ; persistent_matmul.py:0:24
	s_or_b32 exec_lo, exec_lo, s24
	.loc	1 47 41 is_stmt 1               ; persistent_matmul.py:47:41
	v_or_b32_e32 v218, 8, v217
	s_delay_alu instid0(VALU_DEP_1) | instskip(NEXT) | instid1(VALU_DEP_1)
	.loc	1 47 28 is_stmt 0               ; persistent_matmul.py:47:28
	v_or_b32_e32 v3, s28, v218
	.loc	1 49 37 is_stmt 1               ; persistent_matmul.py:49:37
	v_cmp_gt_i32_e32 vcc_lo, s6, v3
	.loc	1 49 49 is_stmt 0               ; persistent_matmul.py:49:49
	v_cndmask_b32_e32 v3, 0, v3, vcc_lo
	s_delay_alu instid0(VALU_DEP_1)
	.loc	1 57 49 is_stmt 1               ; persistent_matmul.py:57:49
	v_mul_lo_u32 v224, v3, s8
	.loc	1 60 24                         ; persistent_matmul.py:60:24
	s_and_saveexec_b32 s24, s29
	s_cbranch_execz .LBB0_5
; %bb.4:
	.loc	1 0 24 is_stmt 0                ; persistent_matmul.py:0:24
	s_delay_alu instid0(VALU_DEP_1) | instskip(NEXT) | instid1(VALU_DEP_1)
	.loc	1 57 61 is_stmt 1               ; persistent_matmul.py:57:61
	v_add_nc_u32_e32 v3, v224, v9
	.loc	1 57 30 is_stmt 0               ; persistent_matmul.py:57:30
	v_ashrrev_i32_e32 v4, 31, v3
	s_delay_alu instid0(VALU_DEP_1) | instskip(NEXT) | instid1(VALU_DEP_1)
	v_lshlrev_b64 v[3:4], 2, v[3:4]
	v_add_co_u32 v3, vcc_lo, s10, v3
	s_delay_alu instid0(VALU_DEP_1)
	v_add_co_ci_u32_e64 v4, null, s11, v4, vcc_lo
	.loc	1 60 24 is_stmt 1               ; persistent_matmul.py:60:24
	global_load_b32 v1, v[3:4], off
.LBB0_5:
	.loc	1 0 24 is_stmt 0                ; persistent_matmul.py:0:24
	s_or_b32 exec_lo, exec_lo, s24
	.loc	1 47 41 is_stmt 1               ; persistent_matmul.py:47:41
	v_or_b32_e32 v219, 16, v217
	v_mov_b32_e32 v4, 0
	s_delay_alu instid0(VALU_DEP_2) | instskip(NEXT) | instid1(VALU_DEP_1)
	.loc	1 47 28 is_stmt 0               ; persistent_matmul.py:47:28
	v_or_b32_e32 v3, s28, v219
	.loc	1 49 37 is_stmt 1               ; persistent_matmul.py:49:37
	v_cmp_gt_i32_e32 vcc_lo, s6, v3
	.loc	1 49 49 is_stmt 0               ; persistent_matmul.py:49:49
	v_cndmask_b32_e32 v3, 0, v3, vcc_lo
	s_delay_alu instid0(VALU_DEP_1)
	.loc	1 57 49 is_stmt 1               ; persistent_matmul.py:57:49
	v_mul_lo_u32 v225, v3, s8
	v_mov_b32_e32 v3, 0
	.loc	1 60 24                         ; persistent_matmul.py:60:24
	s_and_saveexec_b32 s24, s29
	s_cbranch_execz .LBB0_7
; %bb.6:
	.loc	1 0 24 is_stmt 0                ; persistent_matmul.py:0:24
	s_delay_alu instid0(VALU_DEP_2) | instskip(NEXT) | instid1(VALU_DEP_1)
	.loc	1 57 61 is_stmt 1               ; persistent_matmul.py:57:61
	v_add_nc_u32_e32 v4, v225, v9
	.loc	1 57 30 is_stmt 0               ; persistent_matmul.py:57:30
	v_ashrrev_i32_e32 v5, 31, v4
	s_delay_alu instid0(VALU_DEP_1) | instskip(NEXT) | instid1(VALU_DEP_1)
	v_lshlrev_b64 v[4:5], 2, v[4:5]
	v_add_co_u32 v4, vcc_lo, s10, v4
	s_delay_alu instid0(VALU_DEP_1)
	v_add_co_ci_u32_e64 v5, null, s11, v5, vcc_lo
	.loc	1 60 24 is_stmt 1               ; persistent_matmul.py:60:24
	global_load_b32 v4, v[4:5], off
.LBB0_7:
	.loc	1 0 24 is_stmt 0                ; persistent_matmul.py:0:24
	s_or_b32 exec_lo, exec_lo, s24
	.loc	1 47 41 is_stmt 1               ; persistent_matmul.py:47:41
	v_or_b32_e32 v220, 24, v217
	s_mul_i32 s13, s13, s17
	s_delay_alu instid0(VALU_DEP_1) | instskip(NEXT) | instid1(VALU_DEP_1)
	.loc	1 47 28 is_stmt 0               ; persistent_matmul.py:47:28
	v_or_b32_e32 v5, s28, v220
	.loc	1 49 37 is_stmt 1               ; persistent_matmul.py:49:37
	v_cmp_gt_i32_e32 vcc_lo, s6, v5
	.loc	1 49 49 is_stmt 0               ; persistent_matmul.py:49:49
	v_cndmask_b32_e32 v5, 0, v5, vcc_lo
	s_delay_alu instid0(VALU_DEP_1)
	.loc	1 57 49 is_stmt 1               ; persistent_matmul.py:57:49
	v_mul_lo_u32 v227, v5, s8
	.loc	1 60 24                         ; persistent_matmul.py:60:24
	s_and_saveexec_b32 s24, s29
	s_cbranch_execz .LBB0_9
; %bb.8:
	.loc	1 0 24 is_stmt 0                ; persistent_matmul.py:0:24
	s_delay_alu instid0(VALU_DEP_1) | instskip(NEXT) | instid1(VALU_DEP_1)
	.loc	1 57 61 is_stmt 1               ; persistent_matmul.py:57:61
	v_add_nc_u32_e32 v5, v227, v9
	.loc	1 57 30 is_stmt 0               ; persistent_matmul.py:57:30
	v_ashrrev_i32_e32 v6, 31, v5
	s_delay_alu instid0(VALU_DEP_1) | instskip(NEXT) | instid1(VALU_DEP_1)
	v_lshlrev_b64 v[5:6], 2, v[5:6]
	v_add_co_u32 v5, vcc_lo, s10, v5
	s_delay_alu instid0(VALU_DEP_1)
	v_add_co_ci_u32_e64 v6, null, s11, v6, vcc_lo
	.loc	1 60 24 is_stmt 1               ; persistent_matmul.py:60:24
	global_load_b32 v3, v[5:6], off
.LBB0_9:
	.loc	1 0 24 is_stmt 0                ; persistent_matmul.py:0:24
	s_or_b32 exec_lo, exec_lo, s24
	.loc	1 47 41 is_stmt 1               ; persistent_matmul.py:47:41
	v_or_b32_e32 v222, 32, v217
	s_sub_i32 s30, s15, s13
	v_mov_b32_e32 v6, 0
	s_delay_alu instid0(VALU_DEP_2) | instskip(NEXT) | instid1(VALU_DEP_1)
	.loc	1 47 28 is_stmt 0               ; persistent_matmul.py:47:28
	v_or_b32_e32 v5, s28, v222
	.loc	1 49 37 is_stmt 1               ; persistent_matmul.py:49:37
	v_cmp_gt_i32_e32 vcc_lo, s6, v5
	.loc	1 49 49 is_stmt 0               ; persistent_matmul.py:49:49
	v_cndmask_b32_e32 v5, 0, v5, vcc_lo
	s_delay_alu instid0(VALU_DEP_1)
	.loc	1 57 49 is_stmt 1               ; persistent_matmul.py:57:49
	v_mul_lo_u32 v229, v5, s8
	v_mov_b32_e32 v5, 0
	.loc	1 60 24                         ; persistent_matmul.py:60:24
	s_and_saveexec_b32 s13, s29
	s_cbranch_execz .LBB0_11
; %bb.10:
	.loc	1 0 24 is_stmt 0                ; persistent_matmul.py:0:24
	s_delay_alu instid0(VALU_DEP_2) | instskip(NEXT) | instid1(VALU_DEP_1)
	.loc	1 57 61 is_stmt 1               ; persistent_matmul.py:57:61
	v_add_nc_u32_e32 v6, v229, v9
	.loc	1 57 30 is_stmt 0               ; persistent_matmul.py:57:30
	v_ashrrev_i32_e32 v7, 31, v6
	s_delay_alu instid0(VALU_DEP_1) | instskip(NEXT) | instid1(VALU_DEP_1)
	v_lshlrev_b64 v[6:7], 2, v[6:7]
	v_add_co_u32 v6, vcc_lo, s10, v6
	s_delay_alu instid0(VALU_DEP_1)
	v_add_co_ci_u32_e64 v7, null, s11, v7, vcc_lo
	.loc	1 60 24 is_stmt 1               ; persistent_matmul.py:60:24
	global_load_b32 v6, v[6:7], off
.LBB0_11:
	.loc	1 0 24 is_stmt 0                ; persistent_matmul.py:0:24
	s_or_b32 exec_lo, exec_lo, s13
	.loc	1 47 41 is_stmt 1               ; persistent_matmul.py:47:41
	v_or_b32_e32 v223, 40, v217
	s_abs_i32 s31, s30
	s_delay_alu instid0(VALU_DEP_1) | instskip(NEXT) | instid1(VALU_DEP_1)
	.loc	1 47 28 is_stmt 0               ; persistent_matmul.py:47:28
	v_or_b32_e32 v7, s28, v223
	.loc	1 49 37 is_stmt 1               ; persistent_matmul.py:49:37
	v_cmp_gt_i32_e32 vcc_lo, s6, v7
	.loc	1 49 49 is_stmt 0               ; persistent_matmul.py:49:49
	v_cndmask_b32_e32 v7, 0, v7, vcc_lo
	s_delay_alu instid0(VALU_DEP_1)
	.loc	1 57 49 is_stmt 1               ; persistent_matmul.py:57:49
	v_mul_lo_u32 v230, v7, s8
	.loc	1 60 24                         ; persistent_matmul.py:60:24
	s_and_saveexec_b32 s13, s29
	s_cbranch_execz .LBB0_13
; %bb.12:
	.loc	1 0 24 is_stmt 0                ; persistent_matmul.py:0:24
	s_delay_alu instid0(VALU_DEP_1) | instskip(NEXT) | instid1(VALU_DEP_1)
	.loc	1 57 61 is_stmt 1               ; persistent_matmul.py:57:61
	v_add_nc_u32_e32 v7, v230, v9
	.loc	1 57 30 is_stmt 0               ; persistent_matmul.py:57:30
	v_ashrrev_i32_e32 v8, 31, v7
	s_delay_alu instid0(VALU_DEP_1) | instskip(NEXT) | instid1(VALU_DEP_1)
	v_lshlrev_b64 v[7:8], 2, v[7:8]
	v_add_co_u32 v7, vcc_lo, s10, v7
	s_delay_alu instid0(VALU_DEP_1)
	v_add_co_ci_u32_e64 v8, null, s11, v8, vcc_lo
	.loc	1 60 24 is_stmt 1               ; persistent_matmul.py:60:24
	global_load_b32 v5, v[7:8], off
.LBB0_13:
	.loc	1 0 24 is_stmt 0                ; persistent_matmul.py:0:24
	s_or_b32 exec_lo, exec_lo, s13
	.loc	1 47 41 is_stmt 1               ; persistent_matmul.py:47:41
	v_or_b32_e32 v226, 48, v217
	s_mul_hi_u32 s33, s31, s12
	v_mov_b32_e32 v8, 0
	s_delay_alu instid0(VALU_DEP_2) | instskip(NEXT) | instid1(VALU_DEP_1)
	.loc	1 47 28 is_stmt 0               ; persistent_matmul.py:47:28
	v_or_b32_e32 v7, s28, v226
	.loc	1 49 37 is_stmt 1               ; persistent_matmul.py:49:37
	v_cmp_gt_i32_e32 vcc_lo, s6, v7
	.loc	1 49 49 is_stmt 0               ; persistent_matmul.py:49:49
	v_cndmask_b32_e32 v7, 0, v7, vcc_lo
	s_delay_alu instid0(VALU_DEP_1)
	.loc	1 57 49 is_stmt 1               ; persistent_matmul.py:57:49
	v_mul_lo_u32 v231, v7, s8
	v_mov_b32_e32 v7, 0
	.loc	1 60 24                         ; persistent_matmul.py:60:24
	s_and_saveexec_b32 s12, s29
	s_cbranch_execz .LBB0_15
; %bb.14:
	.loc	1 0 24 is_stmt 0                ; persistent_matmul.py:0:24
	s_delay_alu instid0(VALU_DEP_2) | instskip(NEXT) | instid1(VALU_DEP_1)
	.loc	1 57 61 is_stmt 1               ; persistent_matmul.py:57:61
	v_add_nc_u32_e32 v10, v231, v9
	.loc	1 57 30 is_stmt 0               ; persistent_matmul.py:57:30
	v_ashrrev_i32_e32 v11, 31, v10
	s_delay_alu instid0(VALU_DEP_1) | instskip(NEXT) | instid1(VALU_DEP_1)
	v_lshlrev_b64 v[10:11], 2, v[10:11]
	v_add_co_u32 v10, vcc_lo, s10, v10
	s_delay_alu instid0(VALU_DEP_1)
	v_add_co_ci_u32_e64 v11, null, s11, v11, vcc_lo
	.loc	1 60 24 is_stmt 1               ; persistent_matmul.py:60:24
	global_load_b32 v8, v[10:11], off
.LBB0_15:
	.loc	1 0 24 is_stmt 0                ; persistent_matmul.py:0:24
	s_or_b32 exec_lo, exec_lo, s12
	.loc	1 47 41 is_stmt 1               ; persistent_matmul.py:47:41
	v_or_b32_e32 v228, 56, v217
	s_clause 0x1
	s_load_b64 s[12:13], s[0:1], 0x8
	s_load_b32 s24, s[0:1], 0x30
	s_ashr_i32 s27, s27, 31
	.loc	1 47 28 is_stmt 0               ; persistent_matmul.py:47:28
	v_or_b32_e32 v10, s28, v228
	s_ashr_i32 s28, s30, 31
	s_delay_alu instid0(VALU_DEP_1) | instskip(SKIP_1) | instid1(VALU_DEP_1)
	.loc	1 49 37 is_stmt 1               ; persistent_matmul.py:49:37
	v_cmp_gt_i32_e32 vcc_lo, s6, v10
	.loc	1 49 49 is_stmt 0               ; persistent_matmul.py:49:49
	v_cndmask_b32_e32 v10, 0, v10, vcc_lo
	.loc	1 57 49 is_stmt 1               ; persistent_matmul.py:57:49
	v_mul_lo_u32 v233, v10, s8
	.loc	1 60 24                         ; persistent_matmul.py:60:24
	s_and_saveexec_b32 s30, s29
	s_cbranch_execz .LBB0_17
; %bb.16:
	.loc	1 0 24 is_stmt 0                ; persistent_matmul.py:0:24
	s_delay_alu instid0(VALU_DEP_1) | instskip(NEXT) | instid1(VALU_DEP_1)
	.loc	1 57 61 is_stmt 1               ; persistent_matmul.py:57:61
	v_add_nc_u32_e32 v9, v233, v9
	.loc	1 57 30 is_stmt 0               ; persistent_matmul.py:57:30
	v_ashrrev_i32_e32 v10, 31, v9
	s_delay_alu instid0(VALU_DEP_1) | instskip(NEXT) | instid1(VALU_DEP_1)
	v_lshlrev_b64 v[9:10], 2, v[9:10]
	v_add_co_u32 v9, vcc_lo, s10, v9
	s_delay_alu instid0(VALU_DEP_1)
	v_add_co_ci_u32_e64 v10, null, s11, v10, vcc_lo
	.loc	1 60 24 is_stmt 1               ; persistent_matmul.py:60:24
	global_load_b32 v7, v[9:10], off
.LBB0_17:
	.loc	1 0 24 is_stmt 0                ; persistent_matmul.py:0:24
	s_or_b32 exec_lo, exec_lo, s30
.Ltmp25:
	.loc	1 14 44 is_stmt 1               ; persistent_matmul.py:14:44 @[ persistent_matmul.py:44:88 ]
	s_mul_i32 s29, s33, s25
	s_xor_b32 s27, s28, s27
	s_sub_i32 s28, s31, s29
	s_add_i32 s29, s33, 1
	s_sub_i32 s30, s28, s25
	s_cmp_ge_u32 s28, s25
	v_mov_b32_e32 v10, 0
	s_cselect_b32 s29, s29, s33
	s_cselect_b32 s28, s30, s28
	s_add_i32 s30, s29, 1
	s_cmp_ge_u32 s28, s25
	s_cselect_b32 s25, s30, s29
	s_delay_alu instid0(SALU_CYCLE_1) | instskip(NEXT) | instid1(SALU_CYCLE_1)
	s_xor_b32 s25, s25, s27
	s_sub_i32 s27, s25, s27
	s_load_b32 s25, s[0:1], 0x2c
.Ltmp26:
	.loc	1 48 28                         ; persistent_matmul.py:48:28
	v_lshl_or_b32 v9, s27, 6, v209
	s_delay_alu instid0(VALU_DEP_1) | instskip(SKIP_3) | instid1(VALU_DEP_2)
	.loc	1 50 37                         ; persistent_matmul.py:50:37
	v_cmp_gt_i32_e32 vcc_lo, s7, v9
	.loc	1 50 49 is_stmt 0               ; persistent_matmul.py:50:49
	v_cndmask_b32_e32 v9, 0, v9, vcc_lo
	.loc	1 61 64 is_stmt 1               ; persistent_matmul.py:61:64
	v_cmp_gt_i32_e32 vcc_lo, s23, v177
	.loc	1 58 79                         ; persistent_matmul.py:58:79
	s_waitcnt lgkmcnt(0)
	v_mul_lo_u32 v176, v9, s24
	v_mov_b32_e32 v9, 0
	.loc	1 43 59                         ; persistent_matmul.py:43:59
	s_and_b32 s1, vcc_lo, s19
	s_delay_alu instid0(SALU_CYCLE_1)
	.loc	1 61 24                         ; persistent_matmul.py:61:24
	s_and_saveexec_b32 s0, s1
	s_cbranch_execz .LBB0_19
; %bb.18:
	.loc	1 0 24 is_stmt 0                ; persistent_matmul.py:0:24
	s_delay_alu instid0(VALU_DEP_2) | instskip(NEXT) | instid1(VALU_DEP_1)
	v_mad_u64_u32 v[10:11], null, s25, v177, v[176:177]
	v_ashrrev_i32_e32 v11, 31, v10
	s_delay_alu instid0(VALU_DEP_1) | instskip(NEXT) | instid1(VALU_DEP_1)
	v_lshlrev_b64 v[10:11], 2, v[10:11]
	v_add_co_u32 v10, vcc_lo, s12, v10
	s_delay_alu instid0(VALU_DEP_1)
	v_add_co_ci_u32_e64 v11, null, s13, v11, vcc_lo
	.loc	1 61 24                         ; persistent_matmul.py:61:24
	global_load_b32 v10, v[10:11], off
.LBB0_19:
	.loc	1 0 24                          ; persistent_matmul.py:0:24
	s_or_b32 exec_lo, exec_lo, s0
	.loc	1 61 64                         ; persistent_matmul.py:61:64
	v_cmp_gt_i32_e32 vcc_lo, s23, v178
	.loc	1 43 59 is_stmt 1               ; persistent_matmul.py:43:59
	s_and_b32 s1, vcc_lo, s19
	s_delay_alu instid0(SALU_CYCLE_1)
	.loc	1 61 24                         ; persistent_matmul.py:61:24
	s_and_saveexec_b32 s0, s1
	s_cbranch_execz .LBB0_21
; %bb.20:
	.loc	1 58 60                         ; persistent_matmul.py:58:60
	v_mad_u64_u32 v[11:12], null, s25, v178, v[176:177]
	s_delay_alu instid0(VALU_DEP_1) | instskip(NEXT) | instid1(VALU_DEP_1)
	.loc	1 58 30 is_stmt 0               ; persistent_matmul.py:58:30
	v_ashrrev_i32_e32 v12, 31, v11
	v_lshlrev_b64 v[11:12], 2, v[11:12]
	s_delay_alu instid0(VALU_DEP_1) | instskip(NEXT) | instid1(VALU_DEP_1)
	v_add_co_u32 v11, vcc_lo, s12, v11
	v_add_co_ci_u32_e64 v12, null, s13, v12, vcc_lo
	.loc	1 61 24 is_stmt 1               ; persistent_matmul.py:61:24
	global_load_b32 v9, v[11:12], off
.LBB0_21:
	.loc	1 0 24 is_stmt 0                ; persistent_matmul.py:0:24
	s_or_b32 exec_lo, exec_lo, s0
	.loc	1 61 64                         ; persistent_matmul.py:61:64
	v_cmp_gt_i32_e32 vcc_lo, s23, v179
	v_dual_mov_b32 v11, 0 :: v_dual_mov_b32 v12, 0
	.loc	1 43 59 is_stmt 1               ; persistent_matmul.py:43:59
	s_and_b32 s1, vcc_lo, s19
	s_delay_alu instid0(SALU_CYCLE_1)
	.loc	1 61 24                         ; persistent_matmul.py:61:24
	s_and_saveexec_b32 s0, s1
	s_cbranch_execz .LBB0_23
; %bb.22:
	.loc	1 58 60                         ; persistent_matmul.py:58:60
	v_mad_u64_u32 v[12:13], null, s25, v179, v[176:177]
	s_delay_alu instid0(VALU_DEP_1) | instskip(NEXT) | instid1(VALU_DEP_1)
	.loc	1 58 30 is_stmt 0               ; persistent_matmul.py:58:30
	v_ashrrev_i32_e32 v13, 31, v12
	v_lshlrev_b64 v[12:13], 2, v[12:13]
	s_delay_alu instid0(VALU_DEP_1) | instskip(NEXT) | instid1(VALU_DEP_1)
	v_add_co_u32 v12, vcc_lo, s12, v12
	v_add_co_ci_u32_e64 v13, null, s13, v13, vcc_lo
	.loc	1 61 24 is_stmt 1               ; persistent_matmul.py:61:24
	global_load_b32 v12, v[12:13], off
.LBB0_23:
	.loc	1 0 24 is_stmt 0                ; persistent_matmul.py:0:24
	s_or_b32 exec_lo, exec_lo, s0
	.loc	1 61 64                         ; persistent_matmul.py:61:64
	v_cmp_gt_i32_e32 vcc_lo, s23, v180
	.loc	1 43 59 is_stmt 1               ; persistent_matmul.py:43:59
	s_and_b32 s1, vcc_lo, s19
	s_delay_alu instid0(SALU_CYCLE_1)
	.loc	1 61 24                         ; persistent_matmul.py:61:24
	s_and_saveexec_b32 s0, s1
	s_cbranch_execz .LBB0_25
; %bb.24:
	.loc	1 58 60                         ; persistent_matmul.py:58:60
	v_mad_u64_u32 v[13:14], null, s25, v180, v[176:177]
	s_delay_alu instid0(VALU_DEP_1) | instskip(NEXT) | instid1(VALU_DEP_1)
	.loc	1 58 30 is_stmt 0               ; persistent_matmul.py:58:30
	v_ashrrev_i32_e32 v14, 31, v13
	v_lshlrev_b64 v[13:14], 2, v[13:14]
	s_delay_alu instid0(VALU_DEP_1) | instskip(NEXT) | instid1(VALU_DEP_1)
	v_add_co_u32 v13, vcc_lo, s12, v13
	v_add_co_ci_u32_e64 v14, null, s13, v14, vcc_lo
	.loc	1 61 24 is_stmt 1               ; persistent_matmul.py:61:24
	global_load_b32 v11, v[13:14], off
.LBB0_25:
	.loc	1 0 24 is_stmt 0                ; persistent_matmul.py:0:24
	s_or_b32 exec_lo, exec_lo, s0
	.loc	1 61 64                         ; persistent_matmul.py:61:64
	v_cmp_gt_i32_e32 vcc_lo, s23, v181
	v_dual_mov_b32 v13, 0 :: v_dual_mov_b32 v14, 0
	.loc	1 43 59 is_stmt 1               ; persistent_matmul.py:43:59
	s_and_b32 s1, vcc_lo, s19
	s_delay_alu instid0(SALU_CYCLE_1)
	.loc	1 61 24                         ; persistent_matmul.py:61:24
	s_and_saveexec_b32 s0, s1
	s_cbranch_execz .LBB0_27
; %bb.26:
	.loc	1 58 60                         ; persistent_matmul.py:58:60
	v_mad_u64_u32 v[14:15], null, s25, v181, v[176:177]
	s_delay_alu instid0(VALU_DEP_1) | instskip(NEXT) | instid1(VALU_DEP_1)
	.loc	1 58 30 is_stmt 0               ; persistent_matmul.py:58:30
	v_ashrrev_i32_e32 v15, 31, v14
	v_lshlrev_b64 v[14:15], 2, v[14:15]
	s_delay_alu instid0(VALU_DEP_1) | instskip(NEXT) | instid1(VALU_DEP_1)
	v_add_co_u32 v14, vcc_lo, s12, v14
	v_add_co_ci_u32_e64 v15, null, s13, v15, vcc_lo
	.loc	1 61 24 is_stmt 1               ; persistent_matmul.py:61:24
	global_load_b32 v14, v[14:15], off
.LBB0_27:
	.loc	1 0 24 is_stmt 0                ; persistent_matmul.py:0:24
	;; [unrolled: 47-line block ×3, first 2 shown]
	s_or_b32 exec_lo, exec_lo, s0
	.loc	1 61 64                         ; persistent_matmul.py:61:64
	v_cmp_gt_i32_e32 vcc_lo, s23, v184
	.loc	1 43 59 is_stmt 1               ; persistent_matmul.py:43:59
	s_and_b32 s1, vcc_lo, s19
	s_delay_alu instid0(SALU_CYCLE_1)
	.loc	1 61 24                         ; persistent_matmul.py:61:24
	s_and_saveexec_b32 s0, s1
	s_cbranch_execz .LBB0_33
; %bb.32:
	.loc	1 58 60                         ; persistent_matmul.py:58:60
	v_mad_u64_u32 v[17:18], null, s25, v184, v[176:177]
	s_delay_alu instid0(VALU_DEP_1) | instskip(NEXT) | instid1(VALU_DEP_1)
	.loc	1 58 30 is_stmt 0               ; persistent_matmul.py:58:30
	v_ashrrev_i32_e32 v18, 31, v17
	v_lshlrev_b64 v[17:18], 2, v[17:18]
	s_delay_alu instid0(VALU_DEP_1) | instskip(NEXT) | instid1(VALU_DEP_1)
	v_add_co_u32 v17, vcc_lo, s12, v17
	v_add_co_ci_u32_e64 v18, null, s13, v18, vcc_lo
	.loc	1 61 24 is_stmt 1               ; persistent_matmul.py:61:24
	global_load_b32 v15, v[17:18], off
.LBB0_33:
	.loc	1 0 24 is_stmt 0                ; persistent_matmul.py:0:24
	s_or_b32 exec_lo, exec_lo, s0
	.loc	1 60 24 is_stmt 1               ; persistent_matmul.py:60:24
	v_lshlrev_b32_e32 v17, 2, v0
	v_and_b32_e32 v90, 64, v0
	v_and_b32_e32 v232, 0x70, v0
	v_lshlrev_b32_e32 v94, 4, v0
	v_lshlrev_b32_e32 v91, 8, v0
	v_or_b32_e32 v18, 0xe00, v17
	v_add_nc_u32_e32 v234, 0, v17
	v_and_b32_e32 v213, 3, v0
	v_and_b32_e32 v92, 0x70, v17
	v_lshlrev_b32_e32 v93, 6, v0
	v_add_nc_u32_e32 v235, 0, v18
	.loc	1 43 59                         ; persistent_matmul.py:43:59
	s_add_i32 s26, s26, -1
	s_add_i32 s1, s22, -1
	.loc	1 60 24                         ; persistent_matmul.py:60:24
	s_mov_b32 s22, 0
	.loc	1 43 59                         ; persistent_matmul.py:43:59
	s_cmp_lt_i32 s26, 1
	.loc	1 60 24                         ; persistent_matmul.py:60:24
	s_waitcnt vmcnt(0)
	ds_store_2addr_stride64_b32 v234, v2, v1 offset0:64 offset1:66
	ds_store_2addr_stride64_b32 v234, v4, v3 offset0:68 offset1:70
	;; [unrolled: 1-line block ×3, first 2 shown]
	.loc	1 0 0 is_stmt 0                 ; persistent_matmul.py:0
	ds_store_2addr_stride64_b32 v234, v8, v10 offset0:76 offset1:80
	.loc	1 61 24 is_stmt 1               ; persistent_matmul.py:61:24
	ds_store_2addr_stride64_b32 v234, v9, v12 offset0:82 offset1:84
	ds_store_2addr_stride64_b32 v234, v11, v14 offset0:86 offset1:88
	ds_store_2addr_stride64_b32 v234, v13, v16 offset0:90 offset1:92
	.loc	1 0 0 is_stmt 0                 ; persistent_matmul.py:0
	ds_store_2addr_stride64_b32 v235, v7, v15 offset0:64 offset1:80
	s_cbranch_scc1 .LBB0_137
; %bb.34:                               ; %.lr.ph
	v_dual_mov_b32 v215, v92 :: v_dual_and_b32 v0, 0x770, v94
	v_dual_mov_b32 v214, v90 :: v_dual_lshlrev_b32 v1, 12, v213
	v_lshlrev_b32_e32 v3, 4, v232
	s_delay_alu instid0(VALU_DEP_3)
	v_and_or_b32 v236, 0x800, v91, v0
	v_lshlrev_b32_e32 v0, 5, v213
	.loc	1 38 28 is_stmt 1               ; persistent_matmul.py:38:28
	s_add_i32 s27, s15, 0xffffff98
	s_mov_b32 s28, 0
	s_mov_b32 s29, s15
	v_xor_b32_e32 v5, 64, v236
	v_xor_b32_e32 v7, v0, v92
	v_mov_b32_e32 v0, 0
	v_and_b32_e32 v2, 0x800, v93
	v_lshlrev_b32_e32 v4, 4, v216
	v_xor_b32_e32 v6, 0x60, v236
	v_dual_mov_b32 v24, 0 :: v_dual_add_nc_u32 v237, 0, v3
	s_delay_alu instid0(VALU_DEP_4) | instskip(SKIP_3) | instid1(VALU_DEP_4)
	v_add3_u32 v1, 0, v1, v2
	v_xor_b32_e32 v2, 32, v236
	v_dual_mov_b32 v9, v0 :: v_dual_add_nc_u32 v240, 0, v5
	v_dual_mov_b32 v8, 0 :: v_dual_add_nc_u32 v241, 0, v6
	v_lshl_add_u32 v1, v90, 1, v1
	s_delay_alu instid0(VALU_DEP_4) | instskip(SKIP_1) | instid1(VALU_DEP_3)
	v_dual_mov_b32 v16, 0 :: v_dual_add_nc_u32 v239, 0, v2
	v_dual_mov_b32 v28, 0 :: v_dual_mov_b32 v21, v0
	v_dual_mov_b32 v29, v0 :: v_dual_add_nc_u32 v242, v1, v7
	v_dual_mov_b32 v20, 0 :: v_dual_mov_b32 v13, v0
	v_dual_mov_b32 v12, 0 :: v_dual_mov_b32 v5, v0
	v_mov_b32_e32 v1, v0
	v_dual_mov_b32 v25, v0 :: v_dual_add_nc_u32 v238, 0, v4
	v_dual_mov_b32 v17, v0 :: v_dual_mov_b32 v4, 0
	v_mov_b32_e32 v3, v0
	v_mov_b32_e32 v2, v0
	;; [unrolled: 1-line block ×16, first 2 shown]
	s_clause 0x2                            ; 12-byte Folded Spill
	scratch_store_b32 off, v94, off offset:8
	scratch_store_b32 off, v93, off offset:4
	scratch_store_b32 off, v91, off
	s_branch .LBB0_37
.LBB0_35:                               ; %Flow194
                                        ;   in Loop: Header=BB0_37 Depth=1
	.loc	1 0 28 is_stmt 0                ; persistent_matmul.py:0:28
	s_or_b32 exec_lo, exec_lo, s0
.LBB0_36:                               ;   in Loop: Header=BB0_37 Depth=1
	.loc	1 43 59 is_stmt 1               ; persistent_matmul.py:43:59
	v_cndmask_b32_e64 v0, v0, 0, s30
	v_cndmask_b32_e64 v24, v24, 0, s30
	;; [unrolled: 1-line block ×32, first 2 shown]
	s_add_i32 s26, s26, -1
	.loc	1 60 24                         ; persistent_matmul.py:60:24
	s_waitcnt vmcnt(0)
	s_waitcnt_vscnt null, 0x0
	.loc	1 43 59                         ; persistent_matmul.py:43:59
	s_cmp_lg_u32 s26, 0
	.loc	1 60 24                         ; persistent_matmul.py:60:24
	s_barrier
	buffer_gl0_inv
	ds_store_2addr_stride64_b32 v234, v244, v243 offset0:64 offset1:66
	ds_store_2addr_stride64_b32 v234, v246, v245 offset0:68 offset1:70
	;; [unrolled: 1-line block ×3, first 2 shown]
	.loc	1 0 0 is_stmt 0                 ; persistent_matmul.py:0
	ds_store_2addr_stride64_b32 v234, v250, v252 offset0:76 offset1:80
	.loc	1 61 24 is_stmt 1               ; persistent_matmul.py:61:24
	ds_store_2addr_stride64_b32 v234, v251, v254 offset0:82 offset1:84
	ds_store_2addr_stride64_b32 v234, v253, v210 offset0:86 offset1:88
	;; [unrolled: 1-line block ×3, first 2 shown]
	.loc	1 0 0 is_stmt 0                 ; persistent_matmul.py:0
	ds_store_2addr_stride64_b32 v235, v249, v211 offset0:64 offset1:80
	.loc	1 43 59 is_stmt 1               ; persistent_matmul.py:43:59
	s_cbranch_scc0 .LBB0_136
.LBB0_37:                               ; =>This Inner Loop Header: Depth=1
	.loc	1 43 59                         ; persistent_matmul.py:43:59
	s_add_i32 s0, s22, 1
	s_cmp_eq_u32 s22, s1
	s_cselect_b32 s30, -1, 0
	s_delay_alu instid0(SALU_CYCLE_1) | instskip(SKIP_1) | instid1(SALU_CYCLE_1)
	s_and_b32 s22, s30, exec_lo
	s_cselect_b32 s22, 0, s0
	s_cmp_eq_u32 s22, 0
	s_cselect_b32 s0, -1, 0
	s_cmp_lg_u32 s22, 0
	s_cbranch_scc1 .LBB0_39
; %bb.38:                               ;   in Loop: Header=BB0_37 Depth=1
	s_addk_i32 s29, 0x68
	s_delay_alu instid0(SALU_CYCLE_1)
.Ltmp27:
	.loc	1 10 26                         ; persistent_matmul.py:10:26 @[ persistent_matmul.py:44:88 ]
	s_abs_i32 s31, s29
	s_ashr_i32 s34, s29, 31
	s_mul_hi_u32 s33, s31, s21
	s_xor_b32 s36, s34, s20
	s_mul_i32 s35, s33, s18
	s_add_i32 s37, s33, 1
	s_sub_i32 s35, s31, s35
	s_delay_alu instid0(SALU_CYCLE_1)
	s_sub_i32 s38, s35, s18
	s_cmp_ge_u32 s35, s18
	s_cselect_b32 s33, s37, s33
	s_cselect_b32 s35, s38, s35
	s_add_i32 s37, s33, 1
	s_cmp_ge_u32 s35, s18
	s_cselect_b32 s33, s37, s33
	s_delay_alu instid0(SALU_CYCLE_1) | instskip(NEXT) | instid1(SALU_CYCLE_1)
	s_xor_b32 s33, s33, s36
	s_sub_i32 s33, s33, s36
	s_delay_alu instid0(SALU_CYCLE_1) | instskip(SKIP_2) | instid1(SALU_CYCLE_1)
	.loc	1 11 29                         ; persistent_matmul.py:11:29 @[ persistent_matmul.py:44:88 ]
	s_lshl_b32 s35, s33, 3
	.loc	1 14 23                         ; persistent_matmul.py:14:23 @[ persistent_matmul.py:44:88 ]
	s_mul_i32 s33, s33, s17
	.loc	1 12 35                         ; persistent_matmul.py:12:35 @[ persistent_matmul.py:44:88 ]
	s_sub_i32 s36, s14, s35
	.loc	1 12 48 is_stmt 0               ; persistent_matmul.py:12:48 @[ persistent_matmul.py:44:88 ]
	s_min_i32 s36, s36, 8
	s_delay_alu instid0(SALU_CYCLE_1) | instskip(NEXT) | instid1(SALU_CYCLE_1)
	.loc	1 13 37 is_stmt 1               ; persistent_matmul.py:13:37 @[ persistent_matmul.py:44:88 ]
	s_abs_i32 s37, s36
	v_cvt_f32_u32_e32 v32, s37
	s_sub_i32 s39, 0, s37
	s_delay_alu instid0(VALU_DEP_1) | instskip(SKIP_2) | instid1(VALU_DEP_1)
	v_rcp_iflag_f32_e32 v32, v32
	s_waitcnt_depctr depctr_va_vdst(0)
	v_mul_f32_e32 v32, 0x4f7ffffe, v32
	v_cvt_u32_f32_e32 v32, v32
	s_delay_alu instid0(VALU_DEP_1) | instskip(SKIP_1) | instid1(SALU_CYCLE_1)
	v_readfirstlane_b32 s38, v32
	s_mul_i32 s39, s39, s38
	s_mul_hi_u32 s39, s38, s39
	s_delay_alu instid0(SALU_CYCLE_1) | instskip(NEXT) | instid1(SALU_CYCLE_1)
	s_add_i32 s38, s38, s39
	s_mul_hi_u32 s39, s31, s38
	s_delay_alu instid0(SALU_CYCLE_1) | instskip(NEXT) | instid1(SALU_CYCLE_1)
	s_mul_i32 s39, s39, s37
	s_sub_i32 s31, s31, s39
	s_delay_alu instid0(SALU_CYCLE_1) | instskip(SKIP_2) | instid1(SALU_CYCLE_1)
	s_sub_i32 s39, s31, s37
	s_cmp_ge_u32 s31, s37
	s_cselect_b32 s31, s39, s31
	s_sub_i32 s39, s31, s37
	s_cmp_ge_u32 s31, s37
	s_cselect_b32 s31, s39, s31
	.loc	1 14 23                         ; persistent_matmul.py:14:23 @[ persistent_matmul.py:44:88 ]
	s_sub_i32 s33, s29, s33
	.loc	1 13 37                         ; persistent_matmul.py:13:37 @[ persistent_matmul.py:44:88 ]
	s_xor_b32 s31, s31, s34
	.loc	1 14 44                         ; persistent_matmul.py:14:44 @[ persistent_matmul.py:44:88 ]
	s_xor_b32 s36, s33, s36
	s_abs_i32 s33, s33
	.loc	1 13 37                         ; persistent_matmul.py:13:37 @[ persistent_matmul.py:44:88 ]
	s_sub_i32 s31, s31, s34
	.loc	1 14 44                         ; persistent_matmul.py:14:44 @[ persistent_matmul.py:44:88 ]
	s_mul_hi_u32 s34, s33, s38
	.loc	1 13 27                         ; persistent_matmul.py:13:27 @[ persistent_matmul.py:44:88 ]
	s_add_i32 s35, s35, s31
	.loc	1 14 44                         ; persistent_matmul.py:14:44 @[ persistent_matmul.py:44:88 ]
	s_mul_i32 s38, s34, s37
	s_ashr_i32 s36, s36, 31
	s_sub_i32 s31, s33, s38
	s_add_i32 s33, s34, 1
	s_sub_i32 s38, s31, s37
	s_cmp_ge_u32 s31, s37
	s_cselect_b32 s33, s33, s34
	s_cselect_b32 s31, s38, s31
	s_add_i32 s34, s33, 1
	s_cmp_ge_u32 s31, s37
	s_cselect_b32 s31, s34, s33
.Ltmp28:
	.loc	1 45 26                         ; persistent_matmul.py:45:26
	s_lshl_b32 s33, s35, 6
.Ltmp29:
	.loc	1 14 44                         ; persistent_matmul.py:14:44 @[ persistent_matmul.py:44:88 ]
	s_xor_b32 s31, s31, s36
.Ltmp30:
	.loc	1 47 28                         ; persistent_matmul.py:47:28
	v_or_b32_e32 v32, s33, v217
	v_or_b32_e32 v33, s33, v218
	;; [unrolled: 1-line block ×5, first 2 shown]
	.loc	1 49 37                         ; persistent_matmul.py:49:37
	v_cmp_gt_i32_e32 vcc_lo, s6, v32
	.loc	1 47 28                         ; persistent_matmul.py:47:28
	v_or_b32_e32 v37, s33, v223
	v_or_b32_e32 v38, s33, v226
	;; [unrolled: 1-line block ×3, first 2 shown]
.Ltmp31:
	.loc	1 14 44                         ; persistent_matmul.py:14:44 @[ persistent_matmul.py:44:88 ]
	s_sub_i32 s31, s31, s36
.Ltmp32:
	.loc	1 49 49                         ; persistent_matmul.py:49:49
	v_cndmask_b32_e32 v32, 0, v32, vcc_lo
	.loc	1 49 37 is_stmt 0               ; persistent_matmul.py:49:37
	v_cmp_gt_i32_e32 vcc_lo, s6, v33
	.loc	1 48 28 is_stmt 1               ; persistent_matmul.py:48:28
	v_lshl_or_b32 v40, s31, 6, v209
	.loc	1 49 49                         ; persistent_matmul.py:49:49
	v_cndmask_b32_e32 v33, 0, v33, vcc_lo
	.loc	1 49 37 is_stmt 0               ; persistent_matmul.py:49:37
	v_cmp_gt_i32_e32 vcc_lo, s6, v34
	s_delay_alu instid0(VALU_DEP_2)
	.loc	1 57 49 is_stmt 1               ; persistent_matmul.py:57:49
	v_mul_lo_u32 v224, v33, s8
	.loc	1 49 49                         ; persistent_matmul.py:49:49
	v_cndmask_b32_e32 v34, 0, v34, vcc_lo
	.loc	1 49 37 is_stmt 0               ; persistent_matmul.py:49:37
	v_cmp_gt_i32_e32 vcc_lo, s6, v35
	.loc	1 49 49                         ; persistent_matmul.py:49:49
	v_cndmask_b32_e32 v35, 0, v35, vcc_lo
	.loc	1 49 37                         ; persistent_matmul.py:49:37
	v_cmp_gt_i32_e32 vcc_lo, s6, v36
	.loc	1 57 49 is_stmt 1               ; persistent_matmul.py:57:49
	v_mul_lo_u32 v221, v32, s8
	s_delay_alu instid0(VALU_DEP_3)
	v_mul_lo_u32 v227, v35, s8
	.loc	1 49 49                         ; persistent_matmul.py:49:49
	v_cndmask_b32_e32 v36, 0, v36, vcc_lo
	.loc	1 49 37 is_stmt 0               ; persistent_matmul.py:49:37
	v_cmp_gt_i32_e32 vcc_lo, s6, v37
	.loc	1 49 49                         ; persistent_matmul.py:49:49
	v_cndmask_b32_e32 v37, 0, v37, vcc_lo
	.loc	1 49 37                         ; persistent_matmul.py:49:37
	v_cmp_gt_i32_e32 vcc_lo, s6, v38
	.loc	1 57 49 is_stmt 1               ; persistent_matmul.py:57:49
	v_mul_lo_u32 v225, v34, s8
	s_delay_alu instid0(VALU_DEP_3) | instskip(SKIP_2) | instid1(VALU_DEP_2)
	v_mul_lo_u32 v230, v37, s8
	.loc	1 49 49                         ; persistent_matmul.py:49:49
	v_cndmask_b32_e32 v38, 0, v38, vcc_lo
	.loc	1 49 37 is_stmt 0               ; persistent_matmul.py:49:37
	v_cmp_gt_i32_e32 vcc_lo, s6, v39
	.loc	1 57 49 is_stmt 1               ; persistent_matmul.py:57:49
	v_mul_lo_u32 v231, v38, s8
	.loc	1 49 49                         ; persistent_matmul.py:49:49
	v_cndmask_b32_e32 v39, 0, v39, vcc_lo
	.loc	1 50 37                         ; persistent_matmul.py:50:37
	v_cmp_gt_i32_e32 vcc_lo, s7, v40
	.loc	1 57 49                         ; persistent_matmul.py:57:49
	v_mul_lo_u32 v229, v36, s8
	s_delay_alu instid0(VALU_DEP_3) | instskip(SKIP_1) | instid1(VALU_DEP_1)
	v_mul_lo_u32 v233, v39, s8
	.loc	1 50 49                         ; persistent_matmul.py:50:49
	v_cndmask_b32_e32 v40, 0, v40, vcc_lo
	.loc	1 58 79                         ; persistent_matmul.py:58:79
	v_mul_lo_u32 v176, v40, s24
.LBB0_39:                               ;   in Loop: Header=BB0_37 Depth=1
	.loc	1 43 59                         ; persistent_matmul.py:43:59
	s_add_i32 s28, s28, 1
	s_and_b32 s0, s0, exec_lo
	s_cselect_b32 s28, 0, s28
	v_dual_mov_b32 v243, 0 :: v_dual_mov_b32 v244, 0
	.loc	1 56 26                         ; persistent_matmul.py:56:26
	s_lshl_b32 s31, s28, 4
	s_delay_alu instid0(SALU_CYCLE_1) | instskip(SKIP_1) | instid1(SALU_CYCLE_1)
	.loc	1 56 41 is_stmt 0               ; persistent_matmul.py:56:41
	v_or_b32_e32 v32, s31, v216
	.loc	1 60 68 is_stmt 1               ; persistent_matmul.py:60:68
	s_sub_i32 s33, s23, s31
	.loc	1 60 64 is_stmt 0               ; persistent_matmul.py:60:64
	v_cmp_gt_i32_e32 vcc_lo, s33, v216
	s_delay_alu instid0(VALU_DEP_2)
	.loc	1 57 79 is_stmt 1               ; persistent_matmul.py:57:79
	v_mul_lo_u32 v32, v32, s9
	.loc	1 60 24                         ; persistent_matmul.py:60:24
	s_and_saveexec_b32 s34, vcc_lo
	s_cbranch_execz .LBB0_41
; %bb.40:                               ;   in Loop: Header=BB0_37 Depth=1
	.loc	1 0 24 is_stmt 0                ; persistent_matmul.py:0:24
	s_delay_alu instid0(VALU_DEP_1) | instskip(NEXT) | instid1(VALU_DEP_1)
	v_add_nc_u32_e32 v33, v221, v32
	v_ashrrev_i32_e32 v34, 31, v33
	s_delay_alu instid0(VALU_DEP_1) | instskip(NEXT) | instid1(VALU_DEP_1)
	v_lshlrev_b64 v[33:34], 2, v[33:34]
	v_add_co_u32 v33, s0, s10, v33
	s_delay_alu instid0(VALU_DEP_1)
	v_add_co_ci_u32_e64 v34, null, s11, v34, s0
	.loc	1 60 24                         ; persistent_matmul.py:60:24
	global_load_b32 v244, v[33:34], off
.LBB0_41:                               ;   in Loop: Header=BB0_37 Depth=1
	.loc	1 0 24                          ; persistent_matmul.py:0:24
	s_or_b32 exec_lo, exec_lo, s34
	.loc	1 60 24                         ; persistent_matmul.py:60:24
	s_and_saveexec_b32 s34, vcc_lo
	s_cbranch_execz .LBB0_43
; %bb.42:                               ;   in Loop: Header=BB0_37 Depth=1
	.loc	1 0 24                          ; persistent_matmul.py:0:24
	s_delay_alu instid0(VALU_DEP_1) | instskip(NEXT) | instid1(VALU_DEP_1)
	.loc	1 57 61 is_stmt 1               ; persistent_matmul.py:57:61
	v_add_nc_u32_e32 v33, v224, v32
	.loc	1 57 30 is_stmt 0               ; persistent_matmul.py:57:30
	v_ashrrev_i32_e32 v34, 31, v33
	s_delay_alu instid0(VALU_DEP_1) | instskip(NEXT) | instid1(VALU_DEP_1)
	v_lshlrev_b64 v[33:34], 2, v[33:34]
	v_add_co_u32 v33, s0, s10, v33
	s_delay_alu instid0(VALU_DEP_1)
	v_add_co_ci_u32_e64 v34, null, s11, v34, s0
	.loc	1 60 24 is_stmt 1               ; persistent_matmul.py:60:24
	global_load_b32 v243, v[33:34], off
.LBB0_43:                               ;   in Loop: Header=BB0_37 Depth=1
	.loc	1 0 24 is_stmt 0                ; persistent_matmul.py:0:24
	s_or_b32 exec_lo, exec_lo, s34
	v_dual_mov_b32 v245, 0 :: v_dual_mov_b32 v246, 0
	.loc	1 60 24                         ; persistent_matmul.py:60:24
	s_and_saveexec_b32 s34, vcc_lo
	s_cbranch_execz .LBB0_45
; %bb.44:                               ;   in Loop: Header=BB0_37 Depth=1
	.loc	1 57 61 is_stmt 1               ; persistent_matmul.py:57:61
	v_add_nc_u32_e32 v33, v225, v32
	s_delay_alu instid0(VALU_DEP_1) | instskip(NEXT) | instid1(VALU_DEP_1)
	.loc	1 57 30 is_stmt 0               ; persistent_matmul.py:57:30
	v_ashrrev_i32_e32 v34, 31, v33
	v_lshlrev_b64 v[33:34], 2, v[33:34]
	s_delay_alu instid0(VALU_DEP_1) | instskip(NEXT) | instid1(VALU_DEP_1)
	v_add_co_u32 v33, s0, s10, v33
	v_add_co_ci_u32_e64 v34, null, s11, v34, s0
	.loc	1 60 24 is_stmt 1               ; persistent_matmul.py:60:24
	global_load_b32 v246, v[33:34], off
.LBB0_45:                               ;   in Loop: Header=BB0_37 Depth=1
	.loc	1 0 24 is_stmt 0                ; persistent_matmul.py:0:24
	s_or_b32 exec_lo, exec_lo, s34
	.loc	1 60 24                         ; persistent_matmul.py:60:24
	s_and_saveexec_b32 s34, vcc_lo
	s_cbranch_execz .LBB0_47
; %bb.46:                               ;   in Loop: Header=BB0_37 Depth=1
	.loc	1 57 61 is_stmt 1               ; persistent_matmul.py:57:61
	v_add_nc_u32_e32 v33, v227, v32
	s_delay_alu instid0(VALU_DEP_1) | instskip(NEXT) | instid1(VALU_DEP_1)
	.loc	1 57 30 is_stmt 0               ; persistent_matmul.py:57:30
	v_ashrrev_i32_e32 v34, 31, v33
	v_lshlrev_b64 v[33:34], 2, v[33:34]
	s_delay_alu instid0(VALU_DEP_1) | instskip(NEXT) | instid1(VALU_DEP_1)
	v_add_co_u32 v33, s0, s10, v33
	v_add_co_ci_u32_e64 v34, null, s11, v34, s0
	.loc	1 60 24 is_stmt 1               ; persistent_matmul.py:60:24
	global_load_b32 v245, v[33:34], off
.LBB0_47:                               ;   in Loop: Header=BB0_37 Depth=1
	.loc	1 0 24 is_stmt 0                ; persistent_matmul.py:0:24
	s_or_b32 exec_lo, exec_lo, s34
	v_dual_mov_b32 v247, 0 :: v_dual_mov_b32 v248, 0
	.loc	1 60 24                         ; persistent_matmul.py:60:24
	s_and_saveexec_b32 s34, vcc_lo
	s_cbranch_execz .LBB0_49
; %bb.48:                               ;   in Loop: Header=BB0_37 Depth=1
	.loc	1 57 61 is_stmt 1               ; persistent_matmul.py:57:61
	v_add_nc_u32_e32 v33, v229, v32
	s_delay_alu instid0(VALU_DEP_1) | instskip(NEXT) | instid1(VALU_DEP_1)
	.loc	1 57 30 is_stmt 0               ; persistent_matmul.py:57:30
	v_ashrrev_i32_e32 v34, 31, v33
	v_lshlrev_b64 v[33:34], 2, v[33:34]
	s_delay_alu instid0(VALU_DEP_1) | instskip(NEXT) | instid1(VALU_DEP_1)
	v_add_co_u32 v33, s0, s10, v33
	v_add_co_ci_u32_e64 v34, null, s11, v34, s0
	.loc	1 60 24 is_stmt 1               ; persistent_matmul.py:60:24
	global_load_b32 v248, v[33:34], off
.LBB0_49:                               ;   in Loop: Header=BB0_37 Depth=1
	.loc	1 0 24 is_stmt 0                ; persistent_matmul.py:0:24
	s_or_b32 exec_lo, exec_lo, s34
	.loc	1 60 24                         ; persistent_matmul.py:60:24
	s_and_saveexec_b32 s34, vcc_lo
	s_cbranch_execz .LBB0_51
; %bb.50:                               ;   in Loop: Header=BB0_37 Depth=1
	.loc	1 57 61 is_stmt 1               ; persistent_matmul.py:57:61
	v_add_nc_u32_e32 v33, v230, v32
	s_delay_alu instid0(VALU_DEP_1) | instskip(NEXT) | instid1(VALU_DEP_1)
	.loc	1 57 30 is_stmt 0               ; persistent_matmul.py:57:30
	v_ashrrev_i32_e32 v34, 31, v33
	v_lshlrev_b64 v[33:34], 2, v[33:34]
	s_delay_alu instid0(VALU_DEP_1) | instskip(NEXT) | instid1(VALU_DEP_1)
	v_add_co_u32 v33, s0, s10, v33
	v_add_co_ci_u32_e64 v34, null, s11, v34, s0
	.loc	1 60 24 is_stmt 1               ; persistent_matmul.py:60:24
	global_load_b32 v247, v[33:34], off
.LBB0_51:                               ;   in Loop: Header=BB0_37 Depth=1
	.loc	1 0 24 is_stmt 0                ; persistent_matmul.py:0:24
	s_or_b32 exec_lo, exec_lo, s34
	v_dual_mov_b32 v249, 0 :: v_dual_mov_b32 v250, 0
	.loc	1 60 24                         ; persistent_matmul.py:60:24
	s_and_saveexec_b32 s34, vcc_lo
	s_cbranch_execz .LBB0_53
; %bb.52:                               ;   in Loop: Header=BB0_37 Depth=1
	.loc	1 57 61 is_stmt 1               ; persistent_matmul.py:57:61
	v_add_nc_u32_e32 v33, v231, v32
	s_delay_alu instid0(VALU_DEP_1) | instskip(NEXT) | instid1(VALU_DEP_1)
	.loc	1 57 30 is_stmt 0               ; persistent_matmul.py:57:30
	v_ashrrev_i32_e32 v34, 31, v33
	v_lshlrev_b64 v[33:34], 2, v[33:34]
	s_delay_alu instid0(VALU_DEP_1) | instskip(NEXT) | instid1(VALU_DEP_1)
	v_add_co_u32 v33, s0, s10, v33
	v_add_co_ci_u32_e64 v34, null, s11, v34, s0
	.loc	1 60 24 is_stmt 1               ; persistent_matmul.py:60:24
	global_load_b32 v250, v[33:34], off
.LBB0_53:                               ;   in Loop: Header=BB0_37 Depth=1
	.loc	1 0 24 is_stmt 0                ; persistent_matmul.py:0:24
	s_or_b32 exec_lo, exec_lo, s34
	.loc	1 60 24                         ; persistent_matmul.py:60:24
	s_and_saveexec_b32 s0, vcc_lo
	s_cbranch_execz .LBB0_55
; %bb.54:                               ;   in Loop: Header=BB0_37 Depth=1
	.loc	1 57 61 is_stmt 1               ; persistent_matmul.py:57:61
	v_add_nc_u32_e32 v32, v233, v32
	s_delay_alu instid0(VALU_DEP_1) | instskip(NEXT) | instid1(VALU_DEP_1)
	.loc	1 57 30 is_stmt 0               ; persistent_matmul.py:57:30
	v_ashrrev_i32_e32 v33, 31, v32
	v_lshlrev_b64 v[32:33], 2, v[32:33]
	s_delay_alu instid0(VALU_DEP_1) | instskip(NEXT) | instid1(VALU_DEP_1)
	v_add_co_u32 v32, vcc_lo, s10, v32
	v_add_co_ci_u32_e64 v33, null, s11, v33, vcc_lo
	.loc	1 60 24 is_stmt 1               ; persistent_matmul.py:60:24
	global_load_b32 v249, v[32:33], off
.LBB0_55:                               ;   in Loop: Header=BB0_37 Depth=1
	.loc	1 0 24 is_stmt 0                ; persistent_matmul.py:0:24
	s_or_b32 exec_lo, exec_lo, s0
	.loc	1 60 24                         ; persistent_matmul.py:60:24
	s_waitcnt vmcnt(0) lgkmcnt(0)
	s_waitcnt_vscnt null, 0x0
	s_barrier
	buffer_gl0_inv
	ds_load_b128 v[172:175], v237 offset:16384
	ds_load_b128 v[124:127], v237 offset:16400
	;; [unrolled: 1-line block ×32, first 2 shown]
	v_dual_mov_b32 v251, 0 :: v_dual_mov_b32 v252, 0
	.loc	1 61 24 is_stmt 1               ; persistent_matmul.py:61:24
	s_mov_b32 s0, exec_lo
	.loc	1 61 64 is_stmt 0               ; persistent_matmul.py:61:64
	v_cmpx_gt_i32_e64 s33, v177
	.loc	1 61 24                         ; persistent_matmul.py:61:24
	s_cbranch_execz .LBB0_57
; %bb.56:                               ;   in Loop: Header=BB0_37 Depth=1
	.loc	1 56 41 is_stmt 1               ; persistent_matmul.py:56:41
	v_or_b32_e32 v142, s31, v177
	s_delay_alu instid0(VALU_DEP_1) | instskip(NEXT) | instid1(VALU_DEP_1)
	.loc	1 58 60                         ; persistent_matmul.py:58:60
	v_mad_u64_u32 v[140:141], null, v142, s25, v[176:177]
	.loc	1 58 30 is_stmt 0               ; persistent_matmul.py:58:30
	v_ashrrev_i32_e32 v141, 31, v140
	s_delay_alu instid0(VALU_DEP_1) | instskip(NEXT) | instid1(VALU_DEP_1)
	v_lshlrev_b64 v[140:141], 2, v[140:141]
	v_add_co_u32 v140, vcc_lo, s12, v140
	s_delay_alu instid0(VALU_DEP_1)
	v_add_co_ci_u32_e64 v141, null, s13, v141, vcc_lo
	.loc	1 61 24 is_stmt 1               ; persistent_matmul.py:61:24
	global_load_b32 v252, v[140:141], off
.LBB0_57:                               ;   in Loop: Header=BB0_37 Depth=1
	.loc	1 0 24 is_stmt 0                ; persistent_matmul.py:0:24
	s_or_b32 exec_lo, exec_lo, s0
	s_delay_alu instid0(SALU_CYCLE_1)
	.loc	1 61 24                         ; persistent_matmul.py:61:24
	s_mov_b32 s0, exec_lo
	.loc	1 61 64                         ; persistent_matmul.py:61:64
	v_cmpx_gt_i32_e64 s33, v178
	.loc	1 61 24                         ; persistent_matmul.py:61:24
	s_cbranch_execz .LBB0_59
; %bb.58:                               ;   in Loop: Header=BB0_37 Depth=1
	.loc	1 56 41 is_stmt 1               ; persistent_matmul.py:56:41
	v_or_b32_e32 v142, s31, v178
	s_delay_alu instid0(VALU_DEP_1) | instskip(NEXT) | instid1(VALU_DEP_1)
	.loc	1 58 60                         ; persistent_matmul.py:58:60
	v_mad_u64_u32 v[140:141], null, v142, s25, v[176:177]
	.loc	1 58 30 is_stmt 0               ; persistent_matmul.py:58:30
	v_ashrrev_i32_e32 v141, 31, v140
	s_delay_alu instid0(VALU_DEP_1) | instskip(NEXT) | instid1(VALU_DEP_1)
	v_lshlrev_b64 v[140:141], 2, v[140:141]
	v_add_co_u32 v140, vcc_lo, s12, v140
	s_delay_alu instid0(VALU_DEP_1)
	v_add_co_ci_u32_e64 v141, null, s13, v141, vcc_lo
	.loc	1 61 24 is_stmt 1               ; persistent_matmul.py:61:24
	global_load_b32 v251, v[140:141], off
.LBB0_59:                               ;   in Loop: Header=BB0_37 Depth=1
	.loc	1 0 24 is_stmt 0                ; persistent_matmul.py:0:24
	s_or_b32 exec_lo, exec_lo, s0
	v_dual_mov_b32 v253, 0 :: v_dual_mov_b32 v254, 0
	.loc	1 61 24                         ; persistent_matmul.py:61:24
	s_mov_b32 s0, exec_lo
	.loc	1 61 64                         ; persistent_matmul.py:61:64
	v_cmpx_gt_i32_e64 s33, v179
	.loc	1 61 24                         ; persistent_matmul.py:61:24
	s_cbranch_execz .LBB0_61
; %bb.60:                               ;   in Loop: Header=BB0_37 Depth=1
	.loc	1 56 41 is_stmt 1               ; persistent_matmul.py:56:41
	v_or_b32_e32 v142, s31, v179
	s_delay_alu instid0(VALU_DEP_1) | instskip(NEXT) | instid1(VALU_DEP_1)
	.loc	1 58 60                         ; persistent_matmul.py:58:60
	v_mad_u64_u32 v[140:141], null, v142, s25, v[176:177]
	.loc	1 58 30 is_stmt 0               ; persistent_matmul.py:58:30
	v_ashrrev_i32_e32 v141, 31, v140
	s_delay_alu instid0(VALU_DEP_1) | instskip(NEXT) | instid1(VALU_DEP_1)
	v_lshlrev_b64 v[140:141], 2, v[140:141]
	v_add_co_u32 v140, vcc_lo, s12, v140
	s_delay_alu instid0(VALU_DEP_1)
	v_add_co_ci_u32_e64 v141, null, s13, v141, vcc_lo
	.loc	1 61 24 is_stmt 1               ; persistent_matmul.py:61:24
	global_load_b32 v254, v[140:141], off
.LBB0_61:                               ;   in Loop: Header=BB0_37 Depth=1
	.loc	1 0 24 is_stmt 0                ; persistent_matmul.py:0:24
	s_or_b32 exec_lo, exec_lo, s0
	s_delay_alu instid0(SALU_CYCLE_1)
	.loc	1 61 24                         ; persistent_matmul.py:61:24
	s_mov_b32 s0, exec_lo
	.loc	1 61 64                         ; persistent_matmul.py:61:64
	v_cmpx_gt_i32_e64 s33, v180
	.loc	1 61 24                         ; persistent_matmul.py:61:24
	s_cbranch_execz .LBB0_63
; %bb.62:                               ;   in Loop: Header=BB0_37 Depth=1
	.loc	1 56 41 is_stmt 1               ; persistent_matmul.py:56:41
	v_or_b32_e32 v142, s31, v180
	s_delay_alu instid0(VALU_DEP_1) | instskip(NEXT) | instid1(VALU_DEP_1)
	.loc	1 58 60                         ; persistent_matmul.py:58:60
	v_mad_u64_u32 v[140:141], null, v142, s25, v[176:177]
	.loc	1 58 30 is_stmt 0               ; persistent_matmul.py:58:30
	v_ashrrev_i32_e32 v141, 31, v140
	s_delay_alu instid0(VALU_DEP_1) | instskip(NEXT) | instid1(VALU_DEP_1)
	v_lshlrev_b64 v[140:141], 2, v[140:141]
	v_add_co_u32 v140, vcc_lo, s12, v140
	s_delay_alu instid0(VALU_DEP_1)
	v_add_co_ci_u32_e64 v141, null, s13, v141, vcc_lo
	.loc	1 61 24 is_stmt 1               ; persistent_matmul.py:61:24
	global_load_b32 v253, v[140:141], off
.LBB0_63:                               ;   in Loop: Header=BB0_37 Depth=1
	.loc	1 0 24 is_stmt 0                ; persistent_matmul.py:0:24
	s_or_b32 exec_lo, exec_lo, s0
	v_dual_mov_b32 v255, 0 :: v_dual_mov_b32 v210, 0
	.loc	1 61 24                         ; persistent_matmul.py:61:24
	s_mov_b32 s0, exec_lo
	.loc	1 61 64                         ; persistent_matmul.py:61:64
	;; [unrolled: 50-line block ×3, first 2 shown]
	v_cmpx_gt_i32_e64 s33, v183
	.loc	1 61 24                         ; persistent_matmul.py:61:24
	s_cbranch_execz .LBB0_69
; %bb.68:                               ;   in Loop: Header=BB0_37 Depth=1
	.loc	1 56 41 is_stmt 1               ; persistent_matmul.py:56:41
	v_or_b32_e32 v142, s31, v183
	s_delay_alu instid0(VALU_DEP_1) | instskip(NEXT) | instid1(VALU_DEP_1)
	.loc	1 58 60                         ; persistent_matmul.py:58:60
	v_mad_u64_u32 v[140:141], null, v142, s25, v[176:177]
	.loc	1 58 30 is_stmt 0               ; persistent_matmul.py:58:30
	v_ashrrev_i32_e32 v141, 31, v140
	s_delay_alu instid0(VALU_DEP_1) | instskip(NEXT) | instid1(VALU_DEP_1)
	v_lshlrev_b64 v[140:141], 2, v[140:141]
	v_add_co_u32 v140, vcc_lo, s12, v140
	s_delay_alu instid0(VALU_DEP_1)
	v_add_co_ci_u32_e64 v141, null, s13, v141, vcc_lo
	.loc	1 61 24 is_stmt 1               ; persistent_matmul.py:61:24
	global_load_b32 v212, v[140:141], off
.LBB0_69:                               ;   in Loop: Header=BB0_37 Depth=1
	.loc	1 0 24 is_stmt 0                ; persistent_matmul.py:0:24
	s_or_b32 exec_lo, exec_lo, s0
	s_delay_alu instid0(SALU_CYCLE_1)
	.loc	1 61 24                         ; persistent_matmul.py:61:24
	s_mov_b32 s0, exec_lo
	.loc	1 61 64                         ; persistent_matmul.py:61:64
	v_cmpx_gt_i32_e64 s33, v184
	.loc	1 61 24                         ; persistent_matmul.py:61:24
	s_cbranch_execz .LBB0_71
; %bb.70:                               ;   in Loop: Header=BB0_37 Depth=1
	.loc	1 56 41 is_stmt 1               ; persistent_matmul.py:56:41
	v_or_b32_e32 v142, s31, v184
	s_delay_alu instid0(VALU_DEP_1) | instskip(NEXT) | instid1(VALU_DEP_1)
	.loc	1 58 60                         ; persistent_matmul.py:58:60
	v_mad_u64_u32 v[140:141], null, v142, s25, v[176:177]
	.loc	1 58 30 is_stmt 0               ; persistent_matmul.py:58:30
	v_ashrrev_i32_e32 v141, 31, v140
	s_delay_alu instid0(VALU_DEP_1) | instskip(NEXT) | instid1(VALU_DEP_1)
	v_lshlrev_b64 v[140:141], 2, v[140:141]
	v_add_co_u32 v140, vcc_lo, s12, v140
	s_delay_alu instid0(VALU_DEP_1)
	v_add_co_ci_u32_e64 v141, null, s13, v141, vcc_lo
	.loc	1 61 24 is_stmt 1               ; persistent_matmul.py:61:24
	global_load_b32 v211, v[140:141], off
.LBB0_71:                               ;   in Loop: Header=BB0_37 Depth=1
	.loc	1 0 24 is_stmt 0                ; persistent_matmul.py:0:24
	s_or_b32 exec_lo, exec_lo, s0
	.loc	1 61 24                         ; persistent_matmul.py:61:24
	ds_load_b128 v[140:143], v238 offset:20480
	ds_load_b128 v[144:147], v238 offset:20736
	;; [unrolled: 1-line block ×4, first 2 shown]
	.loc	1 43 59 is_stmt 1               ; persistent_matmul.py:43:59
	s_and_not1_b32 vcc_lo, exec_lo, s30
	.loc	1 62 39                         ; persistent_matmul.py:62:39
	s_waitcnt lgkmcnt(3)
	v_fmac_f32_e32 v26, v156, v141
	v_fmac_f32_e32 v1, v164, v140
	;; [unrolled: 1-line block ×4, first 2 shown]
	s_waitcnt lgkmcnt(2)
	v_dual_fmac_f32 v11, v128, v143 :: v_dual_fmac_f32 v26, v157, v145
	v_dual_fmac_f32 v24, v172, v141 :: v_dual_fmac_f32 v1, v165, v144
	s_delay_alu instid0(VALU_DEP_2) | instskip(SKIP_1) | instid1(VALU_DEP_3)
	v_dual_fmac_f32 v18, v156, v142 :: v_dual_fmac_f32 v11, v129, v147
	v_fmac_f32_e32 v25, v164, v141
	v_fmac_f32_e32 v24, v173, v145
	v_dual_fmac_f32 v0, v172, v140 :: v_dual_fmac_f32 v9, v165, v147
	v_fmac_f32_e32 v16, v173, v146
	s_waitcnt lgkmcnt(1)
	v_fmac_f32_e32 v26, v158, v153
	v_dual_fmac_f32 v18, v157, v146 :: v_dual_fmac_f32 v27, v128, v141
	v_fmac_f32_e32 v2, v156, v140
	v_dual_fmac_f32 v14, v136, v142 :: v_dual_fmac_f32 v11, v130, v155
	;; [unrolled: 2-line block ×3, first 2 shown]
	v_fmac_f32_e32 v0, v173, v144
	v_fmac_f32_e32 v1, v166, v152
	s_delay_alu instid0(VALU_DEP_4) | instskip(NEXT) | instid1(VALU_DEP_4)
	v_dual_fmac_f32 v24, v174, v153 :: v_dual_fmac_f32 v17, v165, v146
	v_dual_fmac_f32 v8, v173, v147 :: v_dual_fmac_f32 v19, v128, v142
	v_fmac_f32_e32 v9, v166, v155
	s_waitcnt lgkmcnt(0)
	v_dual_fmac_f32 v16, v174, v154 :: v_dual_fmac_f32 v1, v167, v148
	v_fmac_f32_e32 v24, v175, v149
	v_dual_fmac_f32 v10, v156, v143 :: v_dual_fmac_f32 v19, v129, v146
	v_fmac_f32_e32 v25, v166, v153
	;; [unrolled: 2-line block ×3, first 2 shown]
	v_fmac_f32_e32 v17, v166, v154
	s_delay_alu instid0(VALU_DEP_4) | instskip(NEXT) | instid1(VALU_DEP_4)
	v_dual_fmac_f32 v8, v174, v155 :: v_dual_fmac_f32 v25, v167, v149
	v_dual_fmac_f32 v0, v175, v148 :: v_dual_fmac_f32 v27, v129, v145
	s_delay_alu instid0(VALU_DEP_3) | instskip(NEXT) | instid1(VALU_DEP_3)
	v_fmac_f32_e32 v17, v167, v150
	v_dual_fmac_f32 v8, v175, v151 :: v_dual_fmac_f32 v29, v160, v140
	v_fmac_f32_e32 v20, v168, v141
	v_dual_fmac_f32 v2, v157, v144 :: v_dual_fmac_f32 v5, v160, v143
	s_delay_alu instid0(VALU_DEP_3) | instskip(NEXT) | instid1(VALU_DEP_3)
	v_dual_fmac_f32 v12, v168, v142 :: v_dual_fmac_f32 v29, v161, v144
	v_fmac_f32_e32 v20, v169, v145
	v_dual_fmac_f32 v10, v157, v147 :: v_dual_fmac_f32 v31, v132, v140
	v_fmac_f32_e32 v21, v160, v141
	v_dual_fmac_f32 v28, v168, v140 :: v_dual_fmac_f32 v5, v161, v147
	v_fmac_f32_e32 v12, v169, v146
	v_fmac_f32_e32 v13, v160, v142
	s_delay_alu instid0(VALU_DEP_4) | instskip(NEXT) | instid1(VALU_DEP_4)
	v_dual_fmac_f32 v4, v168, v143 :: v_dual_fmac_f32 v21, v161, v145
	v_fmac_f32_e32 v28, v169, v144
	v_dual_fmac_f32 v2, v158, v152 :: v_dual_fmac_f32 v23, v132, v141
	s_delay_alu instid0(VALU_DEP_4) | instskip(NEXT) | instid1(VALU_DEP_4)
	v_fmac_f32_e32 v13, v161, v146
	v_dual_fmac_f32 v4, v169, v147 :: v_dual_fmac_f32 v29, v162, v152
	v_fmac_f32_e32 v20, v170, v153
	v_fmac_f32_e32 v5, v162, v155
	v_fmac_f32_e32 v12, v170, v154
	v_dual_fmac_f32 v18, v158, v154 :: v_dual_fmac_f32 v7, v132, v143
	v_fmac_f32_e32 v29, v163, v148
	v_fmac_f32_e32 v20, v171, v149
	;; [unrolled: 4-line block ×3, first 2 shown]
	s_delay_alu instid0(VALU_DEP_4) | instskip(NEXT) | instid1(VALU_DEP_4)
	v_dual_fmac_f32 v4, v170, v155 :: v_dual_fmac_f32 v21, v163, v149
	v_fmac_f32_e32 v28, v171, v148
	v_dual_fmac_f32 v10, v158, v155 :: v_dual_fmac_f32 v15, v132, v142
	s_delay_alu instid0(VALU_DEP_4) | instskip(NEXT) | instid1(VALU_DEP_4)
	v_fmac_f32_e32 v13, v163, v150
	v_dual_fmac_f32 v4, v171, v151 :: v_dual_fmac_f32 v3, v128, v140
	v_dual_fmac_f32 v2, v159, v148 :: v_dual_fmac_f32 v23, v133, v145
	;; [unrolled: 1-line block ×8, first 2 shown]
	s_delay_alu instid0(VALU_DEP_3) | instskip(SKIP_1) | instid1(VALU_DEP_4)
	v_dual_fmac_f32 v30, v137, v144 :: v_dual_fmac_f32 v23, v134, v153
	v_dual_fmac_f32 v14, v137, v146 :: v_dual_fmac_f32 v7, v134, v155
	;; [unrolled: 1-line block ×3, first 2 shown]
	s_delay_alu instid0(VALU_DEP_4) | instskip(SKIP_3) | instid1(VALU_DEP_4)
	v_dual_fmac_f32 v3, v130, v152 :: v_dual_fmac_f32 v22, v137, v145
	v_fmac_f32_e32 v31, v134, v152
	v_dual_fmac_f32 v30, v138, v152 :: v_dual_fmac_f32 v27, v131, v149
	v_dual_fmac_f32 v14, v138, v154 :: v_dual_fmac_f32 v11, v131, v151
	;; [unrolled: 1-line block ×4, first 2 shown]
	v_fmac_f32_e32 v31, v135, v148
	v_fmac_f32_e32 v23, v135, v149
	;; [unrolled: 1-line block ×4, first 2 shown]
	.loc	1 61 24                         ; persistent_matmul.py:61:24
	ds_load_b128 v[128:131], v238 offset:21504
	ds_load_b128 v[132:135], v238 offset:21760
	.loc	1 62 39                         ; persistent_matmul.py:62:39
	v_fmac_f32_e32 v30, v139, v148
	v_fmac_f32_e32 v22, v139, v149
	;; [unrolled: 1-line block ×4, first 2 shown]
	.loc	1 61 24                         ; persistent_matmul.py:61:24
	ds_load_b128 v[136:139], v238 offset:22016
	ds_load_b128 v[140:143], v238 offset:22272
	.loc	1 62 39                         ; persistent_matmul.py:62:39
	s_waitcnt lgkmcnt(3)
	v_fmac_f32_e32 v24, v124, v129
	v_fmac_f32_e32 v1, v116, v128
	v_fmac_f32_e32 v16, v124, v130
	v_fmac_f32_e32 v20, v120, v129
	v_fmac_f32_e32 v9, v116, v131
	v_fmac_f32_e32 v0, v124, v128
	s_waitcnt lgkmcnt(2)
	v_fmac_f32_e32 v1, v117, v132
	v_fmac_f32_e32 v24, v125, v133
	;; [unrolled: 1-line block ×4, first 2 shown]
	s_waitcnt lgkmcnt(1)
	v_dual_fmac_f32 v16, v125, v134 :: v_dual_fmac_f32 v1, v118, v136
	v_fmac_f32_e32 v24, v126, v137
	v_fmac_f32_e32 v8, v124, v131
	;; [unrolled: 1-line block ×5, first 2 shown]
	s_waitcnt lgkmcnt(0)
	v_dual_fmac_f32 v24, v127, v141 :: v_dual_fmac_f32 v29, v112, v128
	v_fmac_f32_e32 v9, v118, v139
	v_fmac_f32_e32 v16, v126, v138
	;; [unrolled: 1-line block ×4, first 2 shown]
	v_dual_fmac_f32 v8, v125, v135 :: v_dual_fmac_f32 v25, v118, v137
	v_fmac_f32_e32 v0, v126, v136
	v_dual_fmac_f32 v16, v127, v142 :: v_dual_fmac_f32 v5, v112, v131
	v_dual_fmac_f32 v29, v113, v132 :: v_dual_fmac_f32 v26, v108, v129
	v_fmac_f32_e32 v20, v121, v133
	s_delay_alu instid0(VALU_DEP_4)
	v_dual_fmac_f32 v0, v127, v140 :: v_dual_fmac_f32 v21, v112, v129
	v_dual_fmac_f32 v28, v120, v128 :: v_dual_fmac_f32 v25, v119, v141
	v_fmac_f32_e32 v17, v118, v138
	v_dual_fmac_f32 v8, v126, v139 :: v_dual_fmac_f32 v1, v119, v140
	v_fmac_f32_e32 v9, v119, v143
	v_fmac_f32_e32 v5, v113, v135
	v_dual_fmac_f32 v12, v121, v134 :: v_dual_fmac_f32 v29, v114, v136
	v_fmac_f32_e32 v20, v122, v137
	v_dual_fmac_f32 v8, v127, v143 :: v_dual_fmac_f32 v13, v112, v130
	;; [unrolled: 2-line block ×4, first 2 shown]
	v_fmac_f32_e32 v13, v113, v134
	v_fmac_f32_e32 v21, v114, v137
	v_fmac_f32_e32 v28, v122, v136
	s_delay_alu instid0(VALU_DEP_4)
	v_fmac_f32_e32 v4, v121, v135
	v_dual_fmac_f32 v5, v115, v143 :: v_dual_fmac_f32 v18, v108, v130
	v_fmac_f32_e32 v13, v114, v138
	v_dual_fmac_f32 v21, v115, v141 :: v_dual_fmac_f32 v2, v108, v128
	;; [unrolled: 2-line block ×3, first 2 shown]
	s_delay_alu instid0(VALU_DEP_3)
	v_dual_fmac_f32 v13, v115, v142 :: v_dual_fmac_f32 v2, v109, v132
	v_fmac_f32_e32 v23, v100, v129
	v_dual_fmac_f32 v26, v109, v133 :: v_dual_fmac_f32 v31, v100, v128
	v_dual_fmac_f32 v18, v109, v134 :: v_dual_fmac_f32 v7, v100, v131
	;; [unrolled: 1-line block ×7, first 2 shown]
	s_delay_alu instid0(VALU_DEP_4) | instskip(NEXT) | instid1(VALU_DEP_4)
	v_dual_fmac_f32 v2, v110, v136 :: v_dual_fmac_f32 v27, v97, v133
	v_dual_fmac_f32 v26, v110, v137 :: v_dual_fmac_f32 v3, v97, v132
	s_delay_alu instid0(VALU_DEP_4) | instskip(NEXT) | instid1(VALU_DEP_4)
	v_dual_fmac_f32 v18, v110, v138 :: v_dual_fmac_f32 v11, v97, v135
	v_dual_fmac_f32 v10, v110, v139 :: v_dual_fmac_f32 v19, v97, v134
	;; [unrolled: 3-line block ×4, first 2 shown]
	v_dual_fmac_f32 v30, v104, v128 :: v_dual_fmac_f32 v27, v98, v137
	v_dual_fmac_f32 v22, v104, v129 :: v_dual_fmac_f32 v3, v98, v136
	;; [unrolled: 1-line block ×4, first 2 shown]
	s_delay_alu instid0(VALU_DEP_4) | instskip(NEXT) | instid1(VALU_DEP_4)
	v_dual_fmac_f32 v30, v105, v132 :: v_dual_fmac_f32 v23, v102, v137
	v_dual_fmac_f32 v22, v105, v133 :: v_dual_fmac_f32 v31, v102, v136
	s_delay_alu instid0(VALU_DEP_4) | instskip(NEXT) | instid1(VALU_DEP_4)
	v_dual_fmac_f32 v14, v105, v134 :: v_dual_fmac_f32 v7, v102, v139
	v_dual_fmac_f32 v6, v105, v135 :: v_dual_fmac_f32 v15, v102, v138
	s_delay_alu instid0(VALU_DEP_4) | instskip(NEXT) | instid1(VALU_DEP_4)
	v_dual_fmac_f32 v30, v106, v136 :: v_dual_fmac_f32 v27, v99, v141
	v_dual_fmac_f32 v22, v106, v137 :: v_dual_fmac_f32 v3, v99, v140
	s_delay_alu instid0(VALU_DEP_4) | instskip(NEXT) | instid1(VALU_DEP_4)
	v_dual_fmac_f32 v14, v106, v138 :: v_dual_fmac_f32 v11, v99, v143
	v_dual_fmac_f32 v6, v106, v139 :: v_dual_fmac_f32 v19, v99, v142
	v_fmac_f32_e32 v31, v103, v140
	v_fmac_f32_e32 v23, v103, v141
	;; [unrolled: 1-line block ×4, first 2 shown]
	.loc	1 61 24                         ; persistent_matmul.py:61:24
	ds_load_b128 v[96:99], v238 offset:22528
	ds_load_b128 v[100:103], v238 offset:22784
	.loc	1 62 39                         ; persistent_matmul.py:62:39
	v_fmac_f32_e32 v30, v107, v140
	v_fmac_f32_e32 v22, v107, v141
	;; [unrolled: 1-line block ×4, first 2 shown]
	.loc	1 61 24                         ; persistent_matmul.py:61:24
	ds_load_b128 v[104:107], v238 offset:23040
	ds_load_b128 v[108:111], v238 offset:23296
	.loc	1 62 39                         ; persistent_matmul.py:62:39
	s_waitcnt lgkmcnt(3)
	v_fmac_f32_e32 v24, v92, v97
	v_fmac_f32_e32 v1, v84, v96
	;; [unrolled: 1-line block ×6, first 2 shown]
	s_waitcnt lgkmcnt(2)
	v_fmac_f32_e32 v1, v85, v100
	v_fmac_f32_e32 v24, v93, v101
	;; [unrolled: 1-line block ×4, first 2 shown]
	s_waitcnt lgkmcnt(1)
	v_dual_fmac_f32 v16, v93, v102 :: v_dual_fmac_f32 v1, v86, v104
	v_fmac_f32_e32 v24, v94, v105
	v_fmac_f32_e32 v8, v92, v99
	;; [unrolled: 1-line block ×5, first 2 shown]
	s_waitcnt lgkmcnt(0)
	v_dual_fmac_f32 v24, v95, v109 :: v_dual_fmac_f32 v29, v80, v96
	v_fmac_f32_e32 v9, v86, v107
	v_fmac_f32_e32 v16, v94, v106
	;; [unrolled: 1-line block ×4, first 2 shown]
	v_dual_fmac_f32 v8, v93, v103 :: v_dual_fmac_f32 v25, v86, v105
	v_fmac_f32_e32 v0, v94, v104
	v_dual_fmac_f32 v16, v95, v110 :: v_dual_fmac_f32 v5, v80, v99
	v_dual_fmac_f32 v29, v81, v100 :: v_dual_fmac_f32 v26, v76, v97
	v_fmac_f32_e32 v20, v89, v101
	s_delay_alu instid0(VALU_DEP_4)
	v_dual_fmac_f32 v0, v95, v108 :: v_dual_fmac_f32 v21, v80, v97
	v_dual_fmac_f32 v28, v88, v96 :: v_dual_fmac_f32 v25, v87, v109
	v_fmac_f32_e32 v17, v86, v106
	v_dual_fmac_f32 v8, v94, v107 :: v_dual_fmac_f32 v1, v87, v108
	v_fmac_f32_e32 v9, v87, v111
	v_fmac_f32_e32 v5, v81, v103
	v_dual_fmac_f32 v12, v89, v102 :: v_dual_fmac_f32 v29, v82, v104
	v_fmac_f32_e32 v20, v90, v105
	v_dual_fmac_f32 v8, v95, v111 :: v_dual_fmac_f32 v13, v80, v98
	;; [unrolled: 2-line block ×4, first 2 shown]
	v_fmac_f32_e32 v13, v81, v102
	v_fmac_f32_e32 v21, v82, v105
	;; [unrolled: 1-line block ×3, first 2 shown]
	s_delay_alu instid0(VALU_DEP_4)
	v_fmac_f32_e32 v4, v89, v103
	v_dual_fmac_f32 v5, v83, v111 :: v_dual_fmac_f32 v18, v76, v98
	v_fmac_f32_e32 v13, v82, v106
	v_dual_fmac_f32 v21, v83, v109 :: v_dual_fmac_f32 v2, v76, v96
	;; [unrolled: 2-line block ×3, first 2 shown]
	s_delay_alu instid0(VALU_DEP_3)
	v_dual_fmac_f32 v13, v83, v110 :: v_dual_fmac_f32 v2, v77, v100
	v_fmac_f32_e32 v23, v68, v97
	v_dual_fmac_f32 v26, v77, v101 :: v_dual_fmac_f32 v31, v68, v96
	v_dual_fmac_f32 v18, v77, v102 :: v_dual_fmac_f32 v7, v68, v99
	;; [unrolled: 1-line block ×7, first 2 shown]
	s_delay_alu instid0(VALU_DEP_4) | instskip(NEXT) | instid1(VALU_DEP_4)
	v_dual_fmac_f32 v2, v78, v104 :: v_dual_fmac_f32 v27, v65, v101
	v_dual_fmac_f32 v26, v78, v105 :: v_dual_fmac_f32 v3, v65, v100
	s_delay_alu instid0(VALU_DEP_4) | instskip(NEXT) | instid1(VALU_DEP_4)
	v_dual_fmac_f32 v18, v78, v106 :: v_dual_fmac_f32 v11, v65, v103
	v_dual_fmac_f32 v10, v78, v107 :: v_dual_fmac_f32 v19, v65, v102
	;; [unrolled: 3-line block ×4, first 2 shown]
	v_dual_fmac_f32 v30, v72, v96 :: v_dual_fmac_f32 v27, v66, v105
	v_dual_fmac_f32 v22, v72, v97 :: v_dual_fmac_f32 v3, v66, v104
	;; [unrolled: 1-line block ×4, first 2 shown]
	s_delay_alu instid0(VALU_DEP_4) | instskip(NEXT) | instid1(VALU_DEP_4)
	v_dual_fmac_f32 v30, v73, v100 :: v_dual_fmac_f32 v23, v70, v105
	v_dual_fmac_f32 v22, v73, v101 :: v_dual_fmac_f32 v31, v70, v104
	s_delay_alu instid0(VALU_DEP_4) | instskip(NEXT) | instid1(VALU_DEP_4)
	v_dual_fmac_f32 v14, v73, v102 :: v_dual_fmac_f32 v7, v70, v107
	v_dual_fmac_f32 v6, v73, v103 :: v_dual_fmac_f32 v15, v70, v106
	;; [unrolled: 3-line block ×4, first 2 shown]
	v_fmac_f32_e32 v31, v71, v108
	v_fmac_f32_e32 v23, v71, v109
	;; [unrolled: 1-line block ×4, first 2 shown]
	.loc	1 61 24                         ; persistent_matmul.py:61:24
	ds_load_b128 v[64:67], v238 offset:23552
	ds_load_b128 v[68:71], v238 offset:23808
	.loc	1 62 39                         ; persistent_matmul.py:62:39
	v_fmac_f32_e32 v30, v75, v108
	v_fmac_f32_e32 v22, v75, v109
	v_fmac_f32_e32 v14, v75, v110
	v_fmac_f32_e32 v6, v75, v111
	.loc	1 61 24                         ; persistent_matmul.py:61:24
	ds_load_b128 v[72:75], v238 offset:24064
	ds_load_b128 v[76:79], v238 offset:24320
	.loc	1 62 39                         ; persistent_matmul.py:62:39
	s_waitcnt lgkmcnt(3)
	v_fmac_f32_e32 v24, v60, v65
	v_fmac_f32_e32 v1, v52, v64
	;; [unrolled: 1-line block ×6, first 2 shown]
	s_waitcnt lgkmcnt(2)
	v_fmac_f32_e32 v1, v53, v68
	v_fmac_f32_e32 v24, v61, v69
	;; [unrolled: 1-line block ×4, first 2 shown]
	s_waitcnt lgkmcnt(1)
	v_dual_fmac_f32 v16, v61, v70 :: v_dual_fmac_f32 v1, v54, v72
	v_fmac_f32_e32 v24, v62, v73
	v_fmac_f32_e32 v8, v60, v67
	;; [unrolled: 1-line block ×5, first 2 shown]
	s_waitcnt lgkmcnt(0)
	v_dual_fmac_f32 v24, v63, v77 :: v_dual_fmac_f32 v29, v48, v64
	v_fmac_f32_e32 v9, v54, v75
	v_fmac_f32_e32 v16, v62, v74
	;; [unrolled: 1-line block ×4, first 2 shown]
	v_dual_fmac_f32 v8, v61, v71 :: v_dual_fmac_f32 v25, v54, v73
	v_fmac_f32_e32 v0, v62, v72
	v_dual_fmac_f32 v16, v63, v78 :: v_dual_fmac_f32 v5, v48, v67
	v_dual_fmac_f32 v29, v49, v68 :: v_dual_fmac_f32 v26, v44, v65
	v_fmac_f32_e32 v20, v57, v69
	s_delay_alu instid0(VALU_DEP_4)
	v_dual_fmac_f32 v0, v63, v76 :: v_dual_fmac_f32 v21, v48, v65
	v_dual_fmac_f32 v28, v56, v64 :: v_dual_fmac_f32 v25, v55, v77
	v_fmac_f32_e32 v17, v54, v74
	v_dual_fmac_f32 v8, v62, v75 :: v_dual_fmac_f32 v1, v55, v76
	v_fmac_f32_e32 v9, v55, v79
	v_fmac_f32_e32 v5, v49, v71
	v_dual_fmac_f32 v12, v57, v70 :: v_dual_fmac_f32 v29, v50, v72
	v_fmac_f32_e32 v20, v58, v73
	v_dual_fmac_f32 v8, v63, v79 :: v_dual_fmac_f32 v13, v48, v66
	;; [unrolled: 2-line block ×4, first 2 shown]
	v_fmac_f32_e32 v13, v49, v70
	v_fmac_f32_e32 v21, v50, v73
	;; [unrolled: 1-line block ×3, first 2 shown]
	s_delay_alu instid0(VALU_DEP_4) | instskip(SKIP_3) | instid1(VALU_DEP_4)
	v_fmac_f32_e32 v4, v57, v71
	v_dual_fmac_f32 v5, v51, v79 :: v_dual_fmac_f32 v18, v44, v66
	v_fmac_f32_e32 v13, v50, v74
	v_dual_fmac_f32 v21, v51, v77 :: v_dual_fmac_f32 v2, v44, v64
	v_dual_fmac_f32 v4, v58, v75 :: v_dual_fmac_f32 v29, v51, v76
	s_delay_alu instid0(VALU_DEP_3)
	v_dual_fmac_f32 v13, v51, v78 :: v_dual_fmac_f32 v10, v44, v67
	v_dual_fmac_f32 v28, v59, v76 :: v_dual_fmac_f32 v27, v32, v65
	v_dual_fmac_f32 v20, v59, v77 :: v_dual_fmac_f32 v3, v32, v64
	v_dual_fmac_f32 v12, v59, v78 :: v_dual_fmac_f32 v11, v32, v67
	v_dual_fmac_f32 v4, v59, v79 :: v_dual_fmac_f32 v19, v32, v66
	v_dual_fmac_f32 v2, v45, v68 :: v_dual_fmac_f32 v23, v36, v65
	v_dual_fmac_f32 v26, v45, v69 :: v_dual_fmac_f32 v31, v36, v64
	v_dual_fmac_f32 v18, v45, v70 :: v_dual_fmac_f32 v7, v36, v67
	v_dual_fmac_f32 v10, v45, v71 :: v_dual_fmac_f32 v15, v36, v66
	s_delay_alu instid0(VALU_DEP_4) | instskip(NEXT) | instid1(VALU_DEP_4)
	v_dual_fmac_f32 v2, v46, v72 :: v_dual_fmac_f32 v27, v33, v69
	v_dual_fmac_f32 v26, v46, v73 :: v_dual_fmac_f32 v3, v33, v68
	s_delay_alu instid0(VALU_DEP_4) | instskip(NEXT) | instid1(VALU_DEP_4)
	v_dual_fmac_f32 v18, v46, v74 :: v_dual_fmac_f32 v11, v33, v71
	v_dual_fmac_f32 v10, v46, v75 :: v_dual_fmac_f32 v19, v33, v70
	;; [unrolled: 3-line block ×4, first 2 shown]
	v_dual_fmac_f32 v2, v47, v76 :: v_dual_fmac_f32 v23, v37, v69
	v_dual_fmac_f32 v26, v47, v77 :: v_dual_fmac_f32 v31, v37, v68
	;; [unrolled: 1-line block ×4, first 2 shown]
	s_delay_alu instid0(VALU_DEP_4) | instskip(NEXT) | instid1(VALU_DEP_4)
	v_dual_fmac_f32 v30, v41, v68 :: v_dual_fmac_f32 v23, v38, v73
	v_dual_fmac_f32 v22, v41, v69 :: v_dual_fmac_f32 v31, v38, v72
	s_delay_alu instid0(VALU_DEP_4) | instskip(NEXT) | instid1(VALU_DEP_4)
	v_dual_fmac_f32 v14, v41, v70 :: v_dual_fmac_f32 v7, v38, v75
	v_dual_fmac_f32 v6, v41, v71 :: v_dual_fmac_f32 v15, v38, v74
	;; [unrolled: 3-line block ×4, first 2 shown]
	s_delay_alu instid0(VALU_DEP_4) | instskip(NEXT) | instid1(VALU_DEP_4)
	v_fmac_f32_e32 v30, v43, v76
	v_fmac_f32_e32 v22, v43, v77
	s_delay_alu instid0(VALU_DEP_4) | instskip(NEXT) | instid1(VALU_DEP_4)
	v_fmac_f32_e32 v14, v43, v78
	v_fmac_f32_e32 v6, v43, v79
	;; [unrolled: 1-line block ×6, first 2 shown]
	.loc	1 43 59                         ; persistent_matmul.py:43:59
	s_cbranch_vccnz .LBB0_36
; %bb.72:                               ;   in Loop: Header=BB0_37 Depth=1
	.loc	1 64 21                         ; persistent_matmul.py:64:21
	s_addk_i32 s27, 0x68
	.loc	1 74 25                         ; persistent_matmul.py:74:25
	ds_store_b128 v239, v[24:27] offset:4096
	ds_store_b128 v239, v[20:23] offset:4224
.Ltmp33:
	.loc	1 10 26                         ; persistent_matmul.py:10:26 @[ persistent_matmul.py:65:90 ]
	s_abs_i32 s0, s27
	s_ashr_i32 s33, s27, 31
	s_mul_hi_u32 s31, s0, s21
	s_xor_b32 s35, s33, s20
	s_mul_i32 s34, s31, s18
	s_add_i32 s36, s31, 1
	s_sub_i32 s34, s0, s34
.Ltmp34:
	.loc	1 74 25                         ; persistent_matmul.py:74:25
	ds_store_b128 v240, v[16:19] offset:8192
	ds_store_b128 v240, v[12:15] offset:8320
.Ltmp35:
	.loc	1 10 26                         ; persistent_matmul.py:10:26 @[ persistent_matmul.py:65:90 ]
	s_sub_i32 s37, s34, s18
	s_cmp_ge_u32 s34, s18
.Ltmp36:
	.loc	1 74 25                         ; persistent_matmul.py:74:25
	ds_store_b128 v241, v[8:11] offset:12288
	ds_store_b128 v241, v[4:7] offset:12416
.Ltmp37:
	.loc	1 10 26                         ; persistent_matmul.py:10:26 @[ persistent_matmul.py:65:90 ]
	s_cselect_b32 s31, s36, s31
	s_cselect_b32 s34, s37, s34
	s_add_i32 s36, s31, 1
	s_cmp_ge_u32 s34, s18
	s_cselect_b32 s31, s36, s31
	s_delay_alu instid0(SALU_CYCLE_1) | instskip(NEXT) | instid1(SALU_CYCLE_1)
	s_xor_b32 s31, s31, s35
	s_sub_i32 s31, s31, s35
	s_delay_alu instid0(SALU_CYCLE_1) | instskip(SKIP_2) | instid1(SALU_CYCLE_1)
	.loc	1 11 29                         ; persistent_matmul.py:11:29 @[ persistent_matmul.py:65:90 ]
	s_lshl_b32 s34, s31, 3
	.loc	1 14 23                         ; persistent_matmul.py:14:23 @[ persistent_matmul.py:65:90 ]
	s_mul_i32 s31, s31, s17
	.loc	1 12 35                         ; persistent_matmul.py:12:35 @[ persistent_matmul.py:65:90 ]
	s_sub_i32 s35, s14, s34
	.loc	1 12 48 is_stmt 0               ; persistent_matmul.py:12:48 @[ persistent_matmul.py:65:90 ]
	s_min_i32 s35, s35, 8
	s_delay_alu instid0(SALU_CYCLE_1) | instskip(NEXT) | instid1(SALU_CYCLE_1)
	.loc	1 13 37 is_stmt 1               ; persistent_matmul.py:13:37 @[ persistent_matmul.py:65:90 ]
	s_abs_i32 s36, s35
	v_cvt_f32_u32_e32 v32, s36
	s_sub_i32 s38, 0, s36
	s_delay_alu instid0(VALU_DEP_1) | instskip(SKIP_2) | instid1(VALU_DEP_1)
	v_rcp_iflag_f32_e32 v32, v32
	s_waitcnt_depctr depctr_va_vdst(0)
	v_mul_f32_e32 v32, 0x4f7ffffe, v32
	v_cvt_u32_f32_e32 v32, v32
	s_delay_alu instid0(VALU_DEP_1)
	v_readfirstlane_b32 s37, v32
.Ltmp38:
	.loc	1 74 25                         ; persistent_matmul.py:74:25
	v_add_nc_u32_e32 v32, 0, v236
	ds_store_b128 v32, v[0:3]
	ds_store_b128 v32, v[28:31] offset:128
.Ltmp39:
	.loc	1 13 37                         ; persistent_matmul.py:13:37 @[ persistent_matmul.py:65:90 ]
	s_mul_i32 s38, s38, s37
.Ltmp40:
	.loc	1 74 25                         ; persistent_matmul.py:74:25
	s_waitcnt vmcnt(0) lgkmcnt(0)
.Ltmp41:
	.loc	1 13 37                         ; persistent_matmul.py:13:37 @[ persistent_matmul.py:65:90 ]
	s_mul_hi_u32 s38, s37, s38
.Ltmp42:
	.loc	1 74 25                         ; persistent_matmul.py:74:25
	s_barrier
.Ltmp43:
	.loc	1 13 37                         ; persistent_matmul.py:13:37 @[ persistent_matmul.py:65:90 ]
	s_add_i32 s37, s37, s38
.Ltmp44:
	.loc	1 74 25                         ; persistent_matmul.py:74:25
	buffer_gl0_inv
.Ltmp45:
	.loc	1 13 37                         ; persistent_matmul.py:13:37 @[ persistent_matmul.py:65:90 ]
	s_mul_hi_u32 s38, s0, s37
.Ltmp46:
	.loc	1 74 25                         ; persistent_matmul.py:74:25
	ds_load_b128 v[52:55], v242 offset:512
	ds_load_b128 v[48:51], v242 offset:768
	;; [unrolled: 1-line block ×6, first 2 shown]
.Ltmp47:
	.loc	1 13 37                         ; persistent_matmul.py:13:37 @[ persistent_matmul.py:65:90 ]
	s_mul_i32 s38, s38, s36
.Ltmp48:
	.loc	1 74 25                         ; persistent_matmul.py:74:25
	ds_load_b128 v[60:63], v242
	ds_load_b128 v[56:59], v242 offset:256
.Ltmp49:
	.loc	1 13 37                         ; persistent_matmul.py:13:37 @[ persistent_matmul.py:65:90 ]
	s_sub_i32 s0, s0, s38
	s_delay_alu instid0(SALU_CYCLE_1) | instskip(SKIP_2) | instid1(SALU_CYCLE_1)
	s_sub_i32 s38, s0, s36
	s_cmp_ge_u32 s0, s36
	s_cselect_b32 s0, s38, s0
	s_sub_i32 s38, s0, s36
	s_cmp_ge_u32 s0, s36
	s_cselect_b32 s0, s38, s0
	.loc	1 14 23                         ; persistent_matmul.py:14:23 @[ persistent_matmul.py:65:90 ]
	s_sub_i32 s31, s27, s31
	.loc	1 13 37                         ; persistent_matmul.py:13:37 @[ persistent_matmul.py:65:90 ]
	s_xor_b32 s0, s0, s33
	.loc	1 14 44                         ; persistent_matmul.py:14:44 @[ persistent_matmul.py:65:90 ]
	s_xor_b32 s35, s31, s35
	s_abs_i32 s31, s31
	.loc	1 13 37                         ; persistent_matmul.py:13:37 @[ persistent_matmul.py:65:90 ]
	s_sub_i32 s0, s0, s33
	.loc	1 14 44                         ; persistent_matmul.py:14:44 @[ persistent_matmul.py:65:90 ]
	s_mul_hi_u32 s33, s31, s37
	.loc	1 13 27                         ; persistent_matmul.py:13:27 @[ persistent_matmul.py:65:90 ]
	s_add_i32 s34, s34, s0
	.loc	1 14 44                         ; persistent_matmul.py:14:44 @[ persistent_matmul.py:65:90 ]
	s_mul_i32 s37, s33, s36
	s_ashr_i32 s35, s35, 31
	s_sub_i32 s0, s31, s37
	s_add_i32 s31, s33, 1
	s_sub_i32 s37, s0, s36
	s_cmp_ge_u32 s0, s36
	s_cselect_b32 s31, s31, s33
	s_cselect_b32 s0, s37, s0
	s_add_i32 s33, s31, 1
	s_cmp_ge_u32 s0, s36
	s_cselect_b32 s0, s33, s31
.Ltmp50:
	.loc	1 66 26                         ; persistent_matmul.py:66:26
	s_lshl_b32 s31, s34, 6
.Ltmp51:
	.loc	1 14 44                         ; persistent_matmul.py:14:44 @[ persistent_matmul.py:65:90 ]
	s_xor_b32 s0, s0, s35
.Ltmp52:
	.loc	1 66 41                         ; persistent_matmul.py:66:41
	v_or_b32_e32 v66, s31, v177
.Ltmp53:
	.loc	1 14 44                         ; persistent_matmul.py:14:44 @[ persistent_matmul.py:65:90 ]
	s_sub_i32 s0, s0, s35
	s_delay_alu instid0(SALU_CYCLE_1) | instskip(NEXT) | instid1(VALU_DEP_2)
.Ltmp54:
	.loc	1 67 41                         ; persistent_matmul.py:67:41
	v_lshl_or_b32 v67, s0, 6, v209
	.loc	1 69 37                         ; persistent_matmul.py:69:37
	v_cmp_gt_i32_e64 s0, s6, v66
	s_delay_alu instid0(VALU_DEP_2) | instskip(SKIP_2) | instid1(VALU_DEP_2)
	.loc	1 68 68                         ; persistent_matmul.py:68:68
	v_mul_lo_u32 v64, v67, s3
	.loc	1 69 62                         ; persistent_matmul.py:69:62
	v_cmp_gt_i32_e32 vcc_lo, s7, v67
	.loc	1 69 43 is_stmt 0               ; persistent_matmul.py:69:43
	s_and_b32 s0, s0, vcc_lo
	.loc	1 68 56 is_stmt 1               ; persistent_matmul.py:68:56
	v_ashrrev_i32_e32 v65, 31, v64
	s_delay_alu instid0(VALU_DEP_1)
	v_lshlrev_b64 v[64:65], 2, v[64:65]
	.loc	1 74 25                         ; persistent_matmul.py:74:25
	s_and_saveexec_b32 s33, s0
	s_cbranch_execz .LBB0_74
; %bb.73:                               ;   in Loop: Header=BB0_37 Depth=1
	.loc	1 0 25 is_stmt 0                ; persistent_matmul.py:0:25
	v_mul_lo_u32 v66, v66, s2
	s_delay_alu instid0(VALU_DEP_1) | instskip(NEXT) | instid1(VALU_DEP_1)
	v_ashrrev_i32_e32 v67, 31, v66
	v_lshlrev_b64 v[66:67], 2, v[66:67]
	s_delay_alu instid0(VALU_DEP_1) | instskip(NEXT) | instid1(VALU_DEP_1)
	v_add_co_u32 v66, s0, s4, v66
	v_add_co_ci_u32_e64 v67, null, s5, v67, s0
	s_delay_alu instid0(VALU_DEP_2) | instskip(NEXT) | instid1(VALU_DEP_1)
	v_add_co_u32 v66, s0, v66, v64
	v_add_co_ci_u32_e64 v67, null, v67, v65, s0
	.loc	1 74 25                         ; persistent_matmul.py:74:25
	s_waitcnt lgkmcnt(1)
	global_store_b32 v[66:67], v60, off
.LBB0_74:                               ;   in Loop: Header=BB0_37 Depth=1
	.loc	1 0 25                          ; persistent_matmul.py:0:25
	s_or_b32 exec_lo, exec_lo, s33
	.loc	1 66 41 is_stmt 1               ; persistent_matmul.py:66:41
	s_waitcnt lgkmcnt(1)
	v_or_b32_e32 v60, s31, v178
	s_delay_alu instid0(VALU_DEP_1) | instskip(SKIP_1) | instid1(SALU_CYCLE_1)
	.loc	1 69 37                         ; persistent_matmul.py:69:37
	v_cmp_gt_i32_e64 s0, s6, v60
	.loc	1 69 43 is_stmt 0               ; persistent_matmul.py:69:43
	s_and_b32 s0, s0, vcc_lo
	.loc	1 74 25 is_stmt 1               ; persistent_matmul.py:74:25
	s_and_saveexec_b32 s33, s0
	s_cbranch_execz .LBB0_76
; %bb.75:                               ;   in Loop: Header=BB0_37 Depth=1
	.loc	1 68 37                         ; persistent_matmul.py:68:37
	v_mul_lo_u32 v66, v60, s2
	s_delay_alu instid0(VALU_DEP_1) | instskip(NEXT) | instid1(VALU_DEP_1)
	.loc	1 68 25 is_stmt 0               ; persistent_matmul.py:68:25
	v_ashrrev_i32_e32 v67, 31, v66
	v_lshlrev_b64 v[66:67], 2, v[66:67]
	s_delay_alu instid0(VALU_DEP_1) | instskip(NEXT) | instid1(VALU_DEP_1)
	v_add_co_u32 v60, s0, s4, v66
	v_add_co_ci_u32_e64 v67, null, s5, v67, s0
	s_delay_alu instid0(VALU_DEP_2) | instskip(NEXT) | instid1(VALU_DEP_1)
	.loc	1 68 56                         ; persistent_matmul.py:68:56
	v_add_co_u32 v66, s0, v60, v64
	v_add_co_ci_u32_e64 v67, null, v67, v65, s0
	.loc	1 74 25 is_stmt 1               ; persistent_matmul.py:74:25
	global_store_b32 v[66:67], v61, off
.LBB0_76:                               ;   in Loop: Header=BB0_37 Depth=1
	.loc	1 0 25 is_stmt 0                ; persistent_matmul.py:0:25
	s_or_b32 exec_lo, exec_lo, s33
	.loc	1 66 41 is_stmt 1               ; persistent_matmul.py:66:41
	v_or_b32_e32 v60, s31, v179
	s_delay_alu instid0(VALU_DEP_1) | instskip(SKIP_1) | instid1(SALU_CYCLE_1)
	.loc	1 69 37                         ; persistent_matmul.py:69:37
	v_cmp_gt_i32_e64 s0, s6, v60
	.loc	1 69 43 is_stmt 0               ; persistent_matmul.py:69:43
	s_and_b32 s0, s0, vcc_lo
	.loc	1 74 25 is_stmt 1               ; persistent_matmul.py:74:25
	s_and_saveexec_b32 s33, s0
	s_cbranch_execz .LBB0_78
; %bb.77:                               ;   in Loop: Header=BB0_37 Depth=1
	.loc	1 68 37                         ; persistent_matmul.py:68:37
	v_mul_lo_u32 v60, v60, s2
	s_delay_alu instid0(VALU_DEP_1) | instskip(NEXT) | instid1(VALU_DEP_1)
	.loc	1 68 25 is_stmt 0               ; persistent_matmul.py:68:25
	v_ashrrev_i32_e32 v61, 31, v60
	v_lshlrev_b64 v[60:61], 2, v[60:61]
	s_delay_alu instid0(VALU_DEP_1) | instskip(NEXT) | instid1(VALU_DEP_1)
	v_add_co_u32 v60, s0, s4, v60
	v_add_co_ci_u32_e64 v61, null, s5, v61, s0
	s_delay_alu instid0(VALU_DEP_2) | instskip(NEXT) | instid1(VALU_DEP_1)
	.loc	1 68 56                         ; persistent_matmul.py:68:56
	v_add_co_u32 v60, s0, v60, v64
	v_add_co_ci_u32_e64 v61, null, v61, v65, s0
	.loc	1 74 25 is_stmt 1               ; persistent_matmul.py:74:25
	s_waitcnt lgkmcnt(0)
	global_store_b32 v[60:61], v56, off
.LBB0_78:                               ;   in Loop: Header=BB0_37 Depth=1
	.loc	1 0 25 is_stmt 0                ; persistent_matmul.py:0:25
	s_or_b32 exec_lo, exec_lo, s33
	.loc	1 66 41 is_stmt 1               ; persistent_matmul.py:66:41
	s_waitcnt lgkmcnt(0)
	v_or_b32_e32 v56, s31, v180
	s_delay_alu instid0(VALU_DEP_1) | instskip(SKIP_1) | instid1(SALU_CYCLE_1)
	.loc	1 69 37                         ; persistent_matmul.py:69:37
	v_cmp_gt_i32_e64 s0, s6, v56
	.loc	1 69 43 is_stmt 0               ; persistent_matmul.py:69:43
	s_and_b32 s0, s0, vcc_lo
	.loc	1 74 25 is_stmt 1               ; persistent_matmul.py:74:25
	s_and_saveexec_b32 s33, s0
	s_cbranch_execz .LBB0_80
; %bb.79:                               ;   in Loop: Header=BB0_37 Depth=1
	.loc	1 68 37                         ; persistent_matmul.py:68:37
	v_mul_lo_u32 v60, v56, s2
	s_delay_alu instid0(VALU_DEP_1) | instskip(NEXT) | instid1(VALU_DEP_1)
	.loc	1 68 25 is_stmt 0               ; persistent_matmul.py:68:25
	v_ashrrev_i32_e32 v61, 31, v60
	v_lshlrev_b64 v[60:61], 2, v[60:61]
	s_delay_alu instid0(VALU_DEP_1) | instskip(NEXT) | instid1(VALU_DEP_1)
	v_add_co_u32 v56, s0, s4, v60
	v_add_co_ci_u32_e64 v61, null, s5, v61, s0
	s_delay_alu instid0(VALU_DEP_2) | instskip(NEXT) | instid1(VALU_DEP_1)
	.loc	1 68 56                         ; persistent_matmul.py:68:56
	v_add_co_u32 v60, s0, v56, v64
	v_add_co_ci_u32_e64 v61, null, v61, v65, s0
	.loc	1 74 25 is_stmt 1               ; persistent_matmul.py:74:25
	global_store_b32 v[60:61], v57, off
.LBB0_80:                               ;   in Loop: Header=BB0_37 Depth=1
	.loc	1 0 25 is_stmt 0                ; persistent_matmul.py:0:25
	s_or_b32 exec_lo, exec_lo, s33
	.loc	1 66 41 is_stmt 1               ; persistent_matmul.py:66:41
	v_or_b32_e32 v56, s31, v181
	s_delay_alu instid0(VALU_DEP_1) | instskip(SKIP_1) | instid1(SALU_CYCLE_1)
	.loc	1 69 37                         ; persistent_matmul.py:69:37
	v_cmp_gt_i32_e64 s0, s6, v56
	.loc	1 69 43 is_stmt 0               ; persistent_matmul.py:69:43
	s_and_b32 s0, s0, vcc_lo
	.loc	1 74 25 is_stmt 1               ; persistent_matmul.py:74:25
	s_and_saveexec_b32 s33, s0
	s_cbranch_execz .LBB0_82
; %bb.81:                               ;   in Loop: Header=BB0_37 Depth=1
	.loc	1 68 37                         ; persistent_matmul.py:68:37
	v_mul_lo_u32 v56, v56, s2
	s_delay_alu instid0(VALU_DEP_1) | instskip(NEXT) | instid1(VALU_DEP_1)
	.loc	1 68 25 is_stmt 0               ; persistent_matmul.py:68:25
	v_ashrrev_i32_e32 v57, 31, v56
	v_lshlrev_b64 v[56:57], 2, v[56:57]
	s_delay_alu instid0(VALU_DEP_1) | instskip(NEXT) | instid1(VALU_DEP_1)
	v_add_co_u32 v56, s0, s4, v56
	v_add_co_ci_u32_e64 v57, null, s5, v57, s0
	s_delay_alu instid0(VALU_DEP_2) | instskip(NEXT) | instid1(VALU_DEP_1)
	.loc	1 68 56                         ; persistent_matmul.py:68:56
	v_add_co_u32 v56, s0, v56, v64
	v_add_co_ci_u32_e64 v57, null, v57, v65, s0
	.loc	1 74 25 is_stmt 1               ; persistent_matmul.py:74:25
	global_store_b32 v[56:57], v52, off
.LBB0_82:                               ;   in Loop: Header=BB0_37 Depth=1
	.loc	1 0 25 is_stmt 0                ; persistent_matmul.py:0:25
	s_or_b32 exec_lo, exec_lo, s33
	.loc	1 66 41 is_stmt 1               ; persistent_matmul.py:66:41
	;; [unrolled: 29-line block ×10, first 2 shown]
	v_or_b32_e32 v36, s31, v190
	s_delay_alu instid0(VALU_DEP_1) | instskip(SKIP_1) | instid1(SALU_CYCLE_1)
	.loc	1 69 37                         ; persistent_matmul.py:69:37
	v_cmp_gt_i32_e64 s0, s6, v36
	.loc	1 69 43 is_stmt 0               ; persistent_matmul.py:69:43
	s_and_b32 s0, s0, vcc_lo
	.loc	1 74 25 is_stmt 1               ; persistent_matmul.py:74:25
	s_and_saveexec_b32 s33, s0
	s_cbranch_execz .LBB0_100
; %bb.99:                               ;   in Loop: Header=BB0_37 Depth=1
	.loc	1 68 37                         ; persistent_matmul.py:68:37
	v_mul_lo_u32 v40, v36, s2
	s_delay_alu instid0(VALU_DEP_1) | instskip(NEXT) | instid1(VALU_DEP_1)
	.loc	1 68 25 is_stmt 0               ; persistent_matmul.py:68:25
	v_ashrrev_i32_e32 v41, 31, v40
	v_lshlrev_b64 v[40:41], 2, v[40:41]
	s_delay_alu instid0(VALU_DEP_1) | instskip(NEXT) | instid1(VALU_DEP_1)
	v_add_co_u32 v36, s0, s4, v40
	v_add_co_ci_u32_e64 v41, null, s5, v41, s0
	s_delay_alu instid0(VALU_DEP_2) | instskip(NEXT) | instid1(VALU_DEP_1)
	.loc	1 68 56                         ; persistent_matmul.py:68:56
	v_add_co_u32 v40, s0, v36, v64
	v_add_co_ci_u32_e64 v41, null, v41, v65, s0
	.loc	1 74 25 is_stmt 1               ; persistent_matmul.py:74:25
	global_store_b32 v[40:41], v37, off
.LBB0_100:                              ;   in Loop: Header=BB0_37 Depth=1
	.loc	1 0 25 is_stmt 0                ; persistent_matmul.py:0:25
	s_or_b32 exec_lo, exec_lo, s33
	.loc	1 66 41 is_stmt 1               ; persistent_matmul.py:66:41
	v_or_b32_e32 v36, s31, v191
	s_delay_alu instid0(VALU_DEP_1) | instskip(SKIP_1) | instid1(SALU_CYCLE_1)
	.loc	1 69 37                         ; persistent_matmul.py:69:37
	v_cmp_gt_i32_e64 s0, s6, v36
	.loc	1 69 43 is_stmt 0               ; persistent_matmul.py:69:43
	s_and_b32 s0, s0, vcc_lo
	.loc	1 74 25 is_stmt 1               ; persistent_matmul.py:74:25
	s_and_saveexec_b32 s33, s0
	s_cbranch_execz .LBB0_102
; %bb.101:                              ;   in Loop: Header=BB0_37 Depth=1
	.loc	1 68 37                         ; persistent_matmul.py:68:37
	v_mul_lo_u32 v36, v36, s2
	s_delay_alu instid0(VALU_DEP_1) | instskip(NEXT) | instid1(VALU_DEP_1)
	.loc	1 68 25 is_stmt 0               ; persistent_matmul.py:68:25
	v_ashrrev_i32_e32 v37, 31, v36
	v_lshlrev_b64 v[36:37], 2, v[36:37]
	s_delay_alu instid0(VALU_DEP_1) | instskip(NEXT) | instid1(VALU_DEP_1)
	v_add_co_u32 v36, s0, s4, v36
	v_add_co_ci_u32_e64 v37, null, s5, v37, s0
	s_delay_alu instid0(VALU_DEP_2) | instskip(NEXT) | instid1(VALU_DEP_1)
	.loc	1 68 56                         ; persistent_matmul.py:68:56
	v_add_co_u32 v36, s0, v36, v64
	v_add_co_ci_u32_e64 v37, null, v37, v65, s0
	.loc	1 74 25 is_stmt 1               ; persistent_matmul.py:74:25
	global_store_b32 v[36:37], v32, off
.LBB0_102:                              ;   in Loop: Header=BB0_37 Depth=1
	.loc	1 0 25 is_stmt 0                ; persistent_matmul.py:0:25
	s_or_b32 exec_lo, exec_lo, s33
	.loc	1 66 41 is_stmt 1               ; persistent_matmul.py:66:41
	v_or_b32_e32 v32, s31, v192
	s_delay_alu instid0(VALU_DEP_1) | instskip(SKIP_1) | instid1(SALU_CYCLE_1)
	.loc	1 69 37                         ; persistent_matmul.py:69:37
	v_cmp_gt_i32_e64 s0, s6, v32
	.loc	1 69 43 is_stmt 0               ; persistent_matmul.py:69:43
	s_and_b32 s0, s0, vcc_lo
	.loc	1 74 25 is_stmt 1               ; persistent_matmul.py:74:25
	s_and_saveexec_b32 s33, s0
	s_cbranch_execz .LBB0_104
; %bb.103:                              ;   in Loop: Header=BB0_37 Depth=1
	.loc	1 68 37                         ; persistent_matmul.py:68:37
	v_mul_lo_u32 v36, v32, s2
	s_delay_alu instid0(VALU_DEP_1) | instskip(NEXT) | instid1(VALU_DEP_1)
	.loc	1 68 25 is_stmt 0               ; persistent_matmul.py:68:25
	v_ashrrev_i32_e32 v37, 31, v36
	v_lshlrev_b64 v[36:37], 2, v[36:37]
	s_delay_alu instid0(VALU_DEP_1) | instskip(NEXT) | instid1(VALU_DEP_1)
	v_add_co_u32 v32, s0, s4, v36
	v_add_co_ci_u32_e64 v37, null, s5, v37, s0
	s_delay_alu instid0(VALU_DEP_2) | instskip(NEXT) | instid1(VALU_DEP_1)
	.loc	1 68 56                         ; persistent_matmul.py:68:56
	v_add_co_u32 v36, s0, v32, v64
	v_add_co_ci_u32_e64 v37, null, v37, v65, s0
	.loc	1 74 25 is_stmt 1               ; persistent_matmul.py:74:25
	global_store_b32 v[36:37], v33, off
.LBB0_104:                              ;   in Loop: Header=BB0_37 Depth=1
	;; [unrolled: 29-line block ×17, first 2 shown]
	.loc	1 0 25 is_stmt 0                ; persistent_matmul.py:0:25
	s_or_b32 exec_lo, exec_lo, s33
	.loc	1 66 41 is_stmt 1               ; persistent_matmul.py:66:41
	v_or_b32_e32 v32, s31, v208
	s_delay_alu instid0(VALU_DEP_1) | instskip(SKIP_1) | instid1(SALU_CYCLE_1)
	.loc	1 69 37                         ; persistent_matmul.py:69:37
	v_cmp_gt_i32_e64 s0, s6, v32
	.loc	1 69 43 is_stmt 0               ; persistent_matmul.py:69:43
	s_and_b32 s31, s0, vcc_lo
	.loc	1 74 25 is_stmt 1               ; persistent_matmul.py:74:25
	s_and_saveexec_b32 s0, s31
	s_cbranch_execz .LBB0_35
; %bb.135:                              ;   in Loop: Header=BB0_37 Depth=1
	.loc	1 68 37                         ; persistent_matmul.py:68:37
	v_mul_lo_u32 v32, v32, s2
	s_delay_alu instid0(VALU_DEP_1) | instskip(NEXT) | instid1(VALU_DEP_1)
	.loc	1 68 25 is_stmt 0               ; persistent_matmul.py:68:25
	v_ashrrev_i32_e32 v33, 31, v32
	v_lshlrev_b64 v[32:33], 2, v[32:33]
	s_delay_alu instid0(VALU_DEP_1) | instskip(NEXT) | instid1(VALU_DEP_1)
	v_add_co_u32 v32, vcc_lo, s4, v32
	v_add_co_ci_u32_e64 v33, null, s5, v33, vcc_lo
	s_delay_alu instid0(VALU_DEP_2) | instskip(NEXT) | instid1(VALU_DEP_1)
	.loc	1 68 56                         ; persistent_matmul.py:68:56
	v_add_co_u32 v32, vcc_lo, v32, v64
	v_add_co_ci_u32_e64 v33, null, v33, v65, vcc_lo
	.loc	1 74 25 is_stmt 1               ; persistent_matmul.py:74:25
	global_store_b32 v[32:33], v35, off
	s_branch .LBB0_35
.LBB0_136:                              ; %._crit_edge.loopexit
	.loc	1 0 25 is_stmt 0                ; persistent_matmul.py:0:25
	s_clause 0x2                            ; 12-byte Folded Reload
	scratch_load_b32 v91, off, off
	scratch_load_b32 v93, off, off offset:4
	scratch_load_b32 v94, off, off offset:8
	v_mov_b32_e32 v90, v214
	v_mov_b32_e32 v92, v215
	.loc	1 64 21 is_stmt 1               ; persistent_matmul.py:64:21
	s_add_i32 s0, s27, 0x68
	s_branch .LBB0_138
.LBB0_137:
	.loc	1 0 21 is_stmt 0                ; persistent_matmul.py:0:21
	v_mov_b32_e32 v7, 0
	v_mov_b32_e32 v15, 0
	;; [unrolled: 1-line block ×4, first 2 shown]
	s_delay_alu instid0(VALU_DEP_4)
	v_dual_mov_b32 v11, 0 :: v_dual_mov_b32 v30, v7
	v_dual_mov_b32 v19, 0 :: v_dual_mov_b32 v10, v7
	;; [unrolled: 1-line block ×4, first 2 shown]
	v_mov_b32_e32 v6, v7
	v_mov_b32_e32 v14, v7
	;; [unrolled: 1-line block ×20, first 2 shown]
	s_mov_b32 s0, s15
.LBB0_138:                              ; %._crit_edge
	.loc	1 62 39 is_stmt 1               ; persistent_matmul.py:62:39
	s_and_not1_b32 vcc_lo, exec_lo, s19
	.loc	1 60 24                         ; persistent_matmul.py:60:24
	s_waitcnt vmcnt(0) lgkmcnt(0)
	s_barrier
	buffer_gl0_inv
	.loc	1 62 39                         ; persistent_matmul.py:62:39
	s_cbranch_vccnz .LBB0_140
; %bb.139:
	.loc	1 60 24                         ; persistent_matmul.py:60:24
	v_lshl_add_u32 v45, v232, 4, 0
	.loc	1 61 24                         ; persistent_matmul.py:61:24
	v_lshl_add_u32 v44, v216, 4, 0
	.loc	1 60 24                         ; persistent_matmul.py:60:24
	ds_load_b128 v[40:43], v45 offset:16384
	.loc	1 61 24                         ; persistent_matmul.py:61:24
	ds_load_b128 v[32:35], v44 offset:20480
	ds_load_b128 v[36:39], v44 offset:20736
	.loc	1 60 24                         ; persistent_matmul.py:60:24
	ds_load_b128 v[46:49], v45 offset:16400
	.loc	1 61 24                         ; persistent_matmul.py:61:24
	ds_load_b128 v[50:53], v44 offset:20992
	ds_load_b128 v[54:57], v44 offset:21248
	.loc	1 60 24                         ; persistent_matmul.py:60:24
	ds_load_b128 v[82:85], v45 offset:18624
	ds_load_b128 v[86:89], v45 offset:18640
	.loc	1 62 39                         ; persistent_matmul.py:62:39
	s_waitcnt lgkmcnt(6)
	v_fmac_f32_e32 v0, v40, v32
	v_fmac_f32_e32 v24, v40, v33
	;; [unrolled: 1-line block ×3, first 2 shown]
	s_waitcnt lgkmcnt(1)
	v_dual_fmac_f32 v8, v40, v35 :: v_dual_fmac_f32 v31, v82, v32
	v_fmac_f32_e32 v0, v41, v36
	v_fmac_f32_e32 v24, v41, v37
	;; [unrolled: 1-line block ×3, first 2 shown]
	s_delay_alu instid0(VALU_DEP_4) | instskip(NEXT) | instid1(VALU_DEP_4)
	v_dual_fmac_f32 v8, v41, v39 :: v_dual_fmac_f32 v23, v82, v33
	v_fmac_f32_e32 v0, v42, v50
	s_delay_alu instid0(VALU_DEP_4) | instskip(NEXT) | instid1(VALU_DEP_4)
	v_fmac_f32_e32 v24, v42, v51
	v_fmac_f32_e32 v16, v42, v52
	s_delay_alu instid0(VALU_DEP_4)
	v_fmac_f32_e32 v8, v42, v53
	v_fmac_f32_e32 v15, v82, v34
	;; [unrolled: 1-line block ×6, first 2 shown]
	.loc	1 60 24                         ; persistent_matmul.py:60:24
	ds_load_b128 v[40:43], v45 offset:16448
	ds_load_b128 v[58:61], v45 offset:16464
	.loc	1 62 39                         ; persistent_matmul.py:62:39
	v_fmac_f32_e32 v7, v82, v35
	v_fmac_f32_e32 v31, v83, v36
	;; [unrolled: 1-line block ×4, first 2 shown]
	s_delay_alu instid0(VALU_DEP_4) | instskip(NEXT) | instid1(VALU_DEP_4)
	v_fmac_f32_e32 v7, v83, v39
	v_fmac_f32_e32 v31, v84, v50
	s_delay_alu instid0(VALU_DEP_4) | instskip(NEXT) | instid1(VALU_DEP_4)
	v_fmac_f32_e32 v23, v84, v51
	v_fmac_f32_e32 v15, v84, v52
	;; [unrolled: 3-line block ×4, first 2 shown]
	s_waitcnt lgkmcnt(1)
	v_dual_fmac_f32 v7, v85, v57 :: v_dual_fmac_f32 v28, v40, v32
	v_fmac_f32_e32 v20, v40, v33
	v_fmac_f32_e32 v12, v40, v34
	v_fmac_f32_e32 v4, v40, v35
	s_delay_alu instid0(VALU_DEP_4) | instskip(NEXT) | instid1(VALU_DEP_4)
	v_fmac_f32_e32 v28, v41, v36
	v_fmac_f32_e32 v20, v41, v37
	s_delay_alu instid0(VALU_DEP_4) | instskip(NEXT) | instid1(VALU_DEP_4)
	v_fmac_f32_e32 v12, v41, v38
	v_fmac_f32_e32 v4, v41, v39
	s_delay_alu instid0(VALU_DEP_4) | instskip(NEXT) | instid1(VALU_DEP_4)
	v_fmac_f32_e32 v28, v42, v50
	v_fmac_f32_e32 v20, v42, v51
	s_delay_alu instid0(VALU_DEP_4) | instskip(NEXT) | instid1(VALU_DEP_4)
	v_fmac_f32_e32 v12, v42, v52
	v_fmac_f32_e32 v4, v42, v53
	s_delay_alu instid0(VALU_DEP_4) | instskip(NEXT) | instid1(VALU_DEP_4)
	v_fmac_f32_e32 v28, v43, v54
	v_fmac_f32_e32 v20, v43, v55
	s_delay_alu instid0(VALU_DEP_4) | instskip(NEXT) | instid1(VALU_DEP_4)
	v_fmac_f32_e32 v12, v43, v56
	v_fmac_f32_e32 v4, v43, v57
	.loc	1 60 24                         ; persistent_matmul.py:60:24
	ds_load_b128 v[40:43], v45 offset:16512
	ds_load_b128 v[62:65], v45 offset:16528
	.loc	1 62 39                         ; persistent_matmul.py:62:39
	s_waitcnt lgkmcnt(1)
	v_fmac_f32_e32 v1, v40, v32
	v_fmac_f32_e32 v25, v40, v33
	v_fmac_f32_e32 v17, v40, v34
	v_fmac_f32_e32 v9, v40, v35
	s_delay_alu instid0(VALU_DEP_4) | instskip(NEXT) | instid1(VALU_DEP_4)
	v_fmac_f32_e32 v1, v41, v36
	v_fmac_f32_e32 v25, v41, v37
	s_delay_alu instid0(VALU_DEP_4) | instskip(NEXT) | instid1(VALU_DEP_4)
	v_fmac_f32_e32 v17, v41, v38
	v_fmac_f32_e32 v9, v41, v39
	s_delay_alu instid0(VALU_DEP_4) | instskip(NEXT) | instid1(VALU_DEP_4)
	v_fmac_f32_e32 v1, v42, v50
	v_fmac_f32_e32 v25, v42, v51
	s_delay_alu instid0(VALU_DEP_4) | instskip(NEXT) | instid1(VALU_DEP_4)
	v_fmac_f32_e32 v17, v42, v52
	v_fmac_f32_e32 v9, v42, v53
	s_delay_alu instid0(VALU_DEP_4) | instskip(NEXT) | instid1(VALU_DEP_4)
	v_fmac_f32_e32 v1, v43, v54
	v_fmac_f32_e32 v25, v43, v55
	s_delay_alu instid0(VALU_DEP_4) | instskip(NEXT) | instid1(VALU_DEP_4)
	v_fmac_f32_e32 v17, v43, v56
	v_fmac_f32_e32 v9, v43, v57
	.loc	1 60 24                         ; persistent_matmul.py:60:24
	ds_load_b128 v[40:43], v45 offset:16576
	ds_load_b128 v[66:69], v45 offset:16592
	.loc	1 62 39                         ; persistent_matmul.py:62:39
	s_waitcnt lgkmcnt(1)
	v_fmac_f32_e32 v29, v40, v32
	;; [unrolled: 27-line block ×5, first 2 shown]
	v_fmac_f32_e32 v27, v40, v33
	v_fmac_f32_e32 v19, v40, v34
	;; [unrolled: 1-line block ×3, first 2 shown]
	s_delay_alu instid0(VALU_DEP_4) | instskip(NEXT) | instid1(VALU_DEP_4)
	v_fmac_f32_e32 v3, v41, v36
	v_fmac_f32_e32 v27, v41, v37
	s_delay_alu instid0(VALU_DEP_4) | instskip(NEXT) | instid1(VALU_DEP_4)
	v_fmac_f32_e32 v19, v41, v38
	v_fmac_f32_e32 v11, v41, v39
	.loc	1 61 24                         ; persistent_matmul.py:61:24
	ds_load_b128 v[32:35], v44 offset:21504
	ds_load_b128 v[36:39], v44 offset:21760
	.loc	1 62 39                         ; persistent_matmul.py:62:39
	v_fmac_f32_e32 v3, v42, v50
	v_fmac_f32_e32 v27, v42, v51
	v_fmac_f32_e32 v19, v42, v52
	v_fmac_f32_e32 v11, v42, v53
	s_delay_alu instid0(VALU_DEP_4) | instskip(NEXT) | instid1(VALU_DEP_4)
	v_fmac_f32_e32 v3, v43, v54
	v_fmac_f32_e32 v27, v43, v55
	s_delay_alu instid0(VALU_DEP_4) | instskip(NEXT) | instid1(VALU_DEP_4)
	v_fmac_f32_e32 v19, v43, v56
	v_fmac_f32_e32 v11, v43, v57
	.loc	1 61 24                         ; persistent_matmul.py:61:24
	ds_load_b128 v[40:43], v44 offset:22016
	ds_load_b128 v[50:53], v44 offset:22272
	.loc	1 62 39                         ; persistent_matmul.py:62:39
	s_waitcnt lgkmcnt(3)
	v_fmac_f32_e32 v26, v70, v33
	v_fmac_f32_e32 v1, v62, v32
	v_fmac_f32_e32 v9, v62, v35
	v_fmac_f32_e32 v16, v46, v34
	v_fmac_f32_e32 v25, v62, v33
	s_waitcnt lgkmcnt(2)
	v_fmac_f32_e32 v26, v71, v37
	v_dual_fmac_f32 v24, v46, v33 :: v_dual_fmac_f32 v1, v63, v36
	s_delay_alu instid0(VALU_DEP_3) | instskip(SKIP_1) | instid1(VALU_DEP_3)
	v_dual_fmac_f32 v0, v46, v32 :: v_dual_fmac_f32 v25, v63, v37
	v_fmac_f32_e32 v9, v63, v39
	v_fmac_f32_e32 v24, v47, v37
	;; [unrolled: 1-line block ×3, first 2 shown]
	s_delay_alu instid0(VALU_DEP_4) | instskip(SKIP_3) | instid1(VALU_DEP_3)
	v_dual_fmac_f32 v0, v47, v36 :: v_dual_fmac_f32 v17, v62, v34
	s_waitcnt lgkmcnt(1)
	v_dual_fmac_f32 v8, v46, v35 :: v_dual_fmac_f32 v1, v64, v40
	v_fmac_f32_e32 v25, v64, v41
	v_dual_fmac_f32 v0, v48, v40 :: v_dual_fmac_f32 v17, v63, v38
	s_delay_alu instid0(VALU_DEP_3) | instskip(SKIP_1) | instid1(VALU_DEP_3)
	v_fmac_f32_e32 v8, v47, v39
	s_waitcnt lgkmcnt(0)
	v_dual_fmac_f32 v24, v48, v41 :: v_dual_fmac_f32 v25, v65, v51
	v_fmac_f32_e32 v1, v65, v50
	v_fmac_f32_e32 v0, v49, v50
	s_delay_alu instid0(VALU_DEP_3) | instskip(SKIP_2) | instid1(VALU_DEP_3)
	v_dual_fmac_f32 v17, v64, v42 :: v_dual_fmac_f32 v24, v49, v51
	v_fmac_f32_e32 v16, v48, v42
	v_fmac_f32_e32 v9, v64, v43
	v_dual_fmac_f32 v8, v48, v43 :: v_dual_fmac_f32 v17, v65, v52
	v_fmac_f32_e32 v29, v66, v32
	s_delay_alu instid0(VALU_DEP_4) | instskip(SKIP_4) | instid1(VALU_DEP_4)
	v_fmac_f32_e32 v16, v49, v52
	v_fmac_f32_e32 v20, v58, v33
	;; [unrolled: 1-line block ×3, first 2 shown]
	v_dual_fmac_f32 v8, v49, v53 :: v_dual_fmac_f32 v5, v66, v35
	v_dual_fmac_f32 v12, v58, v34 :: v_dual_fmac_f32 v29, v67, v36
	v_fmac_f32_e32 v20, v59, v37
	v_fmac_f32_e32 v21, v66, v33
	s_delay_alu instid0(VALU_DEP_4) | instskip(NEXT) | instid1(VALU_DEP_4)
	v_dual_fmac_f32 v28, v58, v32 :: v_dual_fmac_f32 v5, v67, v39
	v_fmac_f32_e32 v12, v59, v38
	v_fmac_f32_e32 v13, v66, v34
	s_delay_alu instid0(VALU_DEP_4) | instskip(NEXT) | instid1(VALU_DEP_4)
	;; [unrolled: 4-line block ×3, first 2 shown]
	v_fmac_f32_e32 v13, v67, v38
	v_dual_fmac_f32 v4, v59, v39 :: v_dual_fmac_f32 v21, v68, v41
	s_delay_alu instid0(VALU_DEP_3) | instskip(SKIP_2) | instid1(VALU_DEP_3)
	v_dual_fmac_f32 v28, v60, v40 :: v_dual_fmac_f32 v29, v69, v50
	v_fmac_f32_e32 v20, v60, v41
	v_dual_fmac_f32 v26, v72, v41 :: v_dual_fmac_f32 v11, v78, v35
	v_fmac_f32_e32 v28, v61, v50
	v_fmac_f32_e32 v18, v70, v34
	;; [unrolled: 1-line block ×3, first 2 shown]
	v_dual_fmac_f32 v12, v60, v42 :: v_dual_fmac_f32 v21, v69, v51
	v_dual_fmac_f32 v20, v61, v51 :: v_dual_fmac_f32 v27, v78, v33
	;; [unrolled: 1-line block ×7, first 2 shown]
	s_delay_alu instid0(VALU_DEP_4) | instskip(NEXT) | instid1(VALU_DEP_4)
	v_dual_fmac_f32 v2, v71, v36 :: v_dual_fmac_f32 v5, v69, v53
	v_dual_fmac_f32 v4, v61, v53 :: v_dual_fmac_f32 v3, v78, v32
	s_delay_alu instid0(VALU_DEP_4) | instskip(NEXT) | instid1(VALU_DEP_4)
	v_fmac_f32_e32 v19, v79, v38
	v_dual_fmac_f32 v10, v71, v39 :: v_dual_fmac_f32 v31, v86, v32
	s_delay_alu instid0(VALU_DEP_4) | instskip(SKIP_1) | instid1(VALU_DEP_3)
	v_dual_fmac_f32 v2, v72, v40 :: v_dual_fmac_f32 v23, v86, v33
	v_dual_fmac_f32 v18, v72, v42 :: v_dual_fmac_f32 v7, v86, v35
	;; [unrolled: 1-line block ×11, first 2 shown]
	s_delay_alu instid0(VALU_DEP_3) | instskip(SKIP_1) | instid1(VALU_DEP_4)
	v_dual_fmac_f32 v30, v75, v36 :: v_dual_fmac_f32 v23, v88, v41
	v_fmac_f32_e32 v14, v75, v38
	v_dual_fmac_f32 v6, v75, v39 :: v_dual_fmac_f32 v15, v88, v42
	v_dual_fmac_f32 v3, v80, v40 :: v_dual_fmac_f32 v22, v75, v37
	v_fmac_f32_e32 v31, v88, v40
	v_fmac_f32_e32 v30, v76, v40
	s_delay_alu instid0(VALU_DEP_4) | instskip(NEXT) | instid1(VALU_DEP_4)
	v_dual_fmac_f32 v6, v76, v43 :: v_dual_fmac_f32 v11, v81, v53
	v_dual_fmac_f32 v22, v76, v41 :: v_dual_fmac_f32 v27, v81, v51
	v_fmac_f32_e32 v7, v88, v43
	v_dual_fmac_f32 v14, v76, v42 :: v_dual_fmac_f32 v19, v81, v52
	.loc	1 60 24                         ; persistent_matmul.py:60:24
	ds_load_b128 v[32:35], v45 offset:16416
	.loc	1 61 24                         ; persistent_matmul.py:61:24
	ds_load_b128 v[36:39], v44 offset:22528
	ds_load_b128 v[40:43], v44 offset:22784
	.loc	1 60 24                         ; persistent_matmul.py:60:24
	ds_load_b128 v[46:49], v45 offset:16432
	.loc	1 62 39                         ; persistent_matmul.py:62:39
	v_fmac_f32_e32 v22, v77, v51
	v_fmac_f32_e32 v6, v77, v53
	v_fmac_f32_e32 v14, v77, v52
	v_fmac_f32_e32 v3, v81, v50
	v_fmac_f32_e32 v30, v77, v50
	v_fmac_f32_e32 v31, v89, v50
	v_fmac_f32_e32 v23, v89, v51
	v_fmac_f32_e32 v15, v89, v52
	v_fmac_f32_e32 v7, v89, v53
	.loc	1 61 24                         ; persistent_matmul.py:61:24
	ds_load_b128 v[50:53], v44 offset:23040
	ds_load_b128 v[54:57], v44 offset:23296
	.loc	1 60 24                         ; persistent_matmul.py:60:24
	ds_load_b128 v[82:85], v45 offset:18656
	ds_load_b128 v[86:89], v45 offset:18672
	.loc	1 62 39                         ; persistent_matmul.py:62:39
	s_waitcnt lgkmcnt(6)
	v_fmac_f32_e32 v0, v32, v36
	v_fmac_f32_e32 v24, v32, v37
	v_fmac_f32_e32 v16, v32, v38
	v_fmac_f32_e32 v8, v32, v39
	s_waitcnt lgkmcnt(5)
	v_fmac_f32_e32 v0, v33, v40
	v_fmac_f32_e32 v24, v33, v41
	v_fmac_f32_e32 v16, v33, v42
	v_fmac_f32_e32 v8, v33, v43
	s_waitcnt lgkmcnt(3)
	v_fmac_f32_e32 v0, v34, v50
	v_fmac_f32_e32 v24, v34, v51
	v_fmac_f32_e32 v16, v34, v52
	v_fmac_f32_e32 v8, v34, v53
	s_waitcnt lgkmcnt(1)
	v_dual_fmac_f32 v31, v82, v36 :: v_dual_fmac_f32 v0, v35, v54
	v_fmac_f32_e32 v24, v35, v55
	v_fmac_f32_e32 v16, v35, v56
	;; [unrolled: 1-line block ×3, first 2 shown]
	.loc	1 60 24                         ; persistent_matmul.py:60:24
	ds_load_b128 v[32:35], v45 offset:16480
	ds_load_b128 v[58:61], v45 offset:16496
	.loc	1 62 39                         ; persistent_matmul.py:62:39
	v_fmac_f32_e32 v23, v82, v37
	v_fmac_f32_e32 v15, v82, v38
	;; [unrolled: 1-line block ×4, first 2 shown]
	s_delay_alu instid0(VALU_DEP_4) | instskip(NEXT) | instid1(VALU_DEP_4)
	v_fmac_f32_e32 v23, v83, v41
	v_fmac_f32_e32 v15, v83, v42
	s_delay_alu instid0(VALU_DEP_4) | instskip(NEXT) | instid1(VALU_DEP_4)
	v_fmac_f32_e32 v7, v83, v43
	v_fmac_f32_e32 v31, v84, v50
	;; [unrolled: 3-line block ×5, first 2 shown]
	s_waitcnt lgkmcnt(1)
	v_dual_fmac_f32 v7, v85, v57 :: v_dual_fmac_f32 v28, v32, v36
	v_fmac_f32_e32 v20, v32, v37
	v_fmac_f32_e32 v12, v32, v38
	v_fmac_f32_e32 v4, v32, v39
	s_delay_alu instid0(VALU_DEP_4) | instskip(NEXT) | instid1(VALU_DEP_4)
	v_fmac_f32_e32 v28, v33, v40
	v_fmac_f32_e32 v20, v33, v41
	s_delay_alu instid0(VALU_DEP_4) | instskip(NEXT) | instid1(VALU_DEP_4)
	v_fmac_f32_e32 v12, v33, v42
	v_fmac_f32_e32 v4, v33, v43
	s_delay_alu instid0(VALU_DEP_4) | instskip(NEXT) | instid1(VALU_DEP_4)
	v_fmac_f32_e32 v28, v34, v50
	v_fmac_f32_e32 v20, v34, v51
	s_delay_alu instid0(VALU_DEP_4) | instskip(NEXT) | instid1(VALU_DEP_4)
	v_fmac_f32_e32 v12, v34, v52
	v_fmac_f32_e32 v4, v34, v53
	s_delay_alu instid0(VALU_DEP_4) | instskip(NEXT) | instid1(VALU_DEP_4)
	v_fmac_f32_e32 v28, v35, v54
	v_fmac_f32_e32 v20, v35, v55
	s_delay_alu instid0(VALU_DEP_4) | instskip(NEXT) | instid1(VALU_DEP_4)
	v_fmac_f32_e32 v12, v35, v56
	v_fmac_f32_e32 v4, v35, v57
	.loc	1 60 24                         ; persistent_matmul.py:60:24
	ds_load_b128 v[32:35], v45 offset:16544
	ds_load_b128 v[62:65], v45 offset:16560
	.loc	1 62 39                         ; persistent_matmul.py:62:39
	s_waitcnt lgkmcnt(1)
	v_fmac_f32_e32 v1, v32, v36
	v_fmac_f32_e32 v25, v32, v37
	v_fmac_f32_e32 v17, v32, v38
	v_fmac_f32_e32 v9, v32, v39
	s_delay_alu instid0(VALU_DEP_4) | instskip(NEXT) | instid1(VALU_DEP_4)
	v_fmac_f32_e32 v1, v33, v40
	v_fmac_f32_e32 v25, v33, v41
	s_delay_alu instid0(VALU_DEP_4) | instskip(NEXT) | instid1(VALU_DEP_4)
	v_fmac_f32_e32 v17, v33, v42
	v_fmac_f32_e32 v9, v33, v43
	s_delay_alu instid0(VALU_DEP_4) | instskip(NEXT) | instid1(VALU_DEP_4)
	v_fmac_f32_e32 v1, v34, v50
	v_fmac_f32_e32 v25, v34, v51
	s_delay_alu instid0(VALU_DEP_4) | instskip(NEXT) | instid1(VALU_DEP_4)
	v_fmac_f32_e32 v17, v34, v52
	v_fmac_f32_e32 v9, v34, v53
	s_delay_alu instid0(VALU_DEP_4) | instskip(NEXT) | instid1(VALU_DEP_4)
	v_fmac_f32_e32 v1, v35, v54
	v_fmac_f32_e32 v25, v35, v55
	s_delay_alu instid0(VALU_DEP_4) | instskip(NEXT) | instid1(VALU_DEP_4)
	v_fmac_f32_e32 v17, v35, v56
	v_fmac_f32_e32 v9, v35, v57
	.loc	1 60 24                         ; persistent_matmul.py:60:24
	ds_load_b128 v[32:35], v45 offset:16608
	ds_load_b128 v[66:69], v45 offset:16624
	.loc	1 62 39                         ; persistent_matmul.py:62:39
	s_waitcnt lgkmcnt(1)
	v_fmac_f32_e32 v29, v32, v36
	;; [unrolled: 27-line block ×6, first 2 shown]
	v_fmac_f32_e32 v1, v62, v32
	v_fmac_f32_e32 v9, v62, v35
	;; [unrolled: 1-line block ×4, first 2 shown]
	s_waitcnt lgkmcnt(0)
	v_fmac_f32_e32 v26, v71, v37
	v_dual_fmac_f32 v24, v46, v33 :: v_dual_fmac_f32 v1, v63, v36
	s_delay_alu instid0(VALU_DEP_3) | instskip(SKIP_1) | instid1(VALU_DEP_3)
	v_dual_fmac_f32 v0, v46, v32 :: v_dual_fmac_f32 v25, v63, v37
	v_fmac_f32_e32 v9, v63, v39
	v_fmac_f32_e32 v24, v47, v37
	;; [unrolled: 1-line block ×3, first 2 shown]
	s_delay_alu instid0(VALU_DEP_4)
	v_dual_fmac_f32 v0, v47, v36 :: v_dual_fmac_f32 v17, v62, v34
	v_fmac_f32_e32 v8, v46, v35
	v_fmac_f32_e32 v29, v66, v32
	v_fmac_f32_e32 v20, v58, v33
	v_fmac_f32_e32 v5, v66, v35
	v_fmac_f32_e32 v17, v63, v38
	v_fmac_f32_e32 v8, v47, v39
	.loc	1 61 24                         ; persistent_matmul.py:61:24
	ds_load_b128 v[40:43], v44 offset:24064
	ds_load_b128 v[44:47], v44 offset:24320
	.loc	1 62 39                         ; persistent_matmul.py:62:39
	v_dual_fmac_f32 v12, v58, v34 :: v_dual_fmac_f32 v5, v67, v39
	v_fmac_f32_e32 v29, v67, v36
	v_fmac_f32_e32 v20, v59, v37
	s_delay_alu instid0(VALU_DEP_3) | instskip(SKIP_2) | instid1(VALU_DEP_3)
	v_dual_fmac_f32 v21, v66, v33 :: v_dual_fmac_f32 v12, v59, v38
	v_fmac_f32_e32 v28, v58, v32
	v_fmac_f32_e32 v13, v66, v34
	v_dual_fmac_f32 v4, v58, v35 :: v_dual_fmac_f32 v21, v67, v37
	s_delay_alu instid0(VALU_DEP_3) | instskip(NEXT) | instid1(VALU_DEP_3)
	v_dual_fmac_f32 v11, v78, v35 :: v_dual_fmac_f32 v28, v59, v36
	v_fmac_f32_e32 v13, v67, v38
	s_delay_alu instid0(VALU_DEP_3) | instskip(NEXT) | instid1(VALU_DEP_3)
	v_fmac_f32_e32 v4, v59, v39
	v_dual_fmac_f32 v18, v70, v34 :: v_dual_fmac_f32 v11, v79, v39
	v_fmac_f32_e32 v27, v78, v33
	v_fmac_f32_e32 v2, v70, v32
	s_waitcnt lgkmcnt(1)
	v_fmac_f32_e32 v1, v64, v40
	v_fmac_f32_e32 v24, v48, v41
	;; [unrolled: 1-line block ×5, first 2 shown]
	s_waitcnt lgkmcnt(0)
	v_fmac_f32_e32 v1, v65, v44
	v_fmac_f32_e32 v24, v49, v45
	v_dual_fmac_f32 v0, v48, v40 :: v_dual_fmac_f32 v9, v65, v47
	v_fmac_f32_e32 v16, v49, v46
	v_fmac_f32_e32 v17, v64, v42
	v_dual_fmac_f32 v8, v48, v43 :: v_dual_fmac_f32 v25, v65, v45
	s_delay_alu instid0(VALU_DEP_4) | instskip(SKIP_1) | instid1(VALU_DEP_4)
	v_fmac_f32_e32 v0, v49, v44
	v_fmac_f32_e32 v29, v68, v40
	;; [unrolled: 1-line block ×3, first 2 shown]
	s_delay_alu instid0(VALU_DEP_4) | instskip(SKIP_4) | instid1(VALU_DEP_4)
	v_fmac_f32_e32 v8, v49, v47
	v_fmac_f32_e32 v20, v60, v41
	v_fmac_f32_e32 v5, v68, v43
	v_dual_fmac_f32 v12, v60, v42 :: v_dual_fmac_f32 v29, v69, v44
	v_fmac_f32_e32 v26, v72, v41
	v_fmac_f32_e32 v20, v61, v45
	v_fmac_f32_e32 v21, v68, v41
	v_dual_fmac_f32 v28, v60, v40 :: v_dual_fmac_f32 v5, v69, v47
	;; [unrolled: 4-line block ×3, first 2 shown]
	v_dual_fmac_f32 v28, v61, v44 :: v_dual_fmac_f32 v19, v78, v34
	v_dual_fmac_f32 v10, v70, v35 :: v_dual_fmac_f32 v27, v79, v37
	s_delay_alu instid0(VALU_DEP_4) | instskip(NEXT) | instid1(VALU_DEP_4)
	v_dual_fmac_f32 v2, v71, v36 :: v_dual_fmac_f32 v13, v69, v46
	v_dual_fmac_f32 v4, v61, v47 :: v_dual_fmac_f32 v3, v78, v32
	s_delay_alu instid0(VALU_DEP_4) | instskip(NEXT) | instid1(VALU_DEP_4)
	v_fmac_f32_e32 v19, v79, v38
	v_dual_fmac_f32 v10, v71, v39 :: v_dual_fmac_f32 v31, v86, v32
	s_delay_alu instid0(VALU_DEP_4) | instskip(SKIP_1) | instid1(VALU_DEP_3)
	v_dual_fmac_f32 v2, v72, v40 :: v_dual_fmac_f32 v23, v86, v33
	v_dual_fmac_f32 v18, v72, v42 :: v_dual_fmac_f32 v7, v86, v35
	;; [unrolled: 1-line block ×11, first 2 shown]
	s_delay_alu instid0(VALU_DEP_4) | instskip(NEXT) | instid1(VALU_DEP_3)
	v_dual_fmac_f32 v30, v75, v36 :: v_dual_fmac_f32 v23, v88, v41
	v_dual_fmac_f32 v14, v75, v38 :: v_dual_fmac_f32 v7, v88, v43
	s_delay_alu instid0(VALU_DEP_3) | instskip(SKIP_4) | instid1(VALU_DEP_4)
	v_dual_fmac_f32 v6, v75, v39 :: v_dual_fmac_f32 v15, v88, v42
	v_dual_fmac_f32 v3, v80, v40 :: v_dual_fmac_f32 v22, v75, v37
	v_fmac_f32_e32 v31, v88, v40
	v_dual_fmac_f32 v30, v76, v40 :: v_dual_fmac_f32 v27, v81, v45
	v_dual_fmac_f32 v14, v76, v42 :: v_dual_fmac_f32 v11, v81, v47
	;; [unrolled: 1-line block ×4, first 2 shown]
	s_delay_alu instid0(VALU_DEP_4) | instskip(NEXT) | instid1(VALU_DEP_3)
	v_fmac_f32_e32 v30, v77, v44
	v_fmac_f32_e32 v22, v77, v45
	v_fmac_f32_e32 v14, v77, v46
	s_delay_alu instid0(VALU_DEP_4)
	v_fmac_f32_e32 v6, v77, v47
	v_fmac_f32_e32 v31, v89, v44
	;; [unrolled: 1-line block ×5, first 2 shown]
.LBB0_140:
	.loc	1 43 59                         ; persistent_matmul.py:43:59
	s_cmp_lg_u32 s22, s1
	s_cselect_b32 s1, -1, 0
	s_xor_b32 s8, s19, -1
	s_delay_alu instid0(SALU_CYCLE_1) | instskip(NEXT) | instid1(SALU_CYCLE_1)
	s_or_b32 s1, s8, s1
	s_and_b32 vcc_lo, exec_lo, s1
	s_cbranch_vccnz .LBB0_206
; %bb.141:
.Ltmp55:
	.loc	1 10 26                         ; persistent_matmul.py:10:26 @[ persistent_matmul.py:65:90 ]
	s_abs_i32 s1, s0
	s_ashr_i32 s9, s0, 31
	s_mul_hi_u32 s8, s1, s21
	s_xor_b32 s11, s9, s20
	s_mul_i32 s10, s8, s18
	s_add_i32 s12, s8, 1
	s_sub_i32 s10, s1, s10
.Ltmp56:
	.loc	1 74 25                         ; persistent_matmul.py:74:25
	v_and_b32_e32 v33, 0x770, v94
.Ltmp57:
	.loc	1 10 26                         ; persistent_matmul.py:10:26 @[ persistent_matmul.py:65:90 ]
	s_sub_i32 s13, s10, s18
	s_cmp_ge_u32 s10, s18
.Ltmp58:
	.loc	1 74 25                         ; persistent_matmul.py:74:25
	v_lshlrev_b32_e32 v34, 12, v213
.Ltmp59:
	.loc	1 10 26                         ; persistent_matmul.py:10:26 @[ persistent_matmul.py:65:90 ]
	s_cselect_b32 s8, s12, s8
	s_cselect_b32 s10, s13, s10
	s_add_i32 s12, s8, 1
	s_cmp_ge_u32 s10, s18
.Ltmp60:
	.loc	1 74 25                         ; persistent_matmul.py:74:25
	v_and_b32_e32 v36, 0x800, v93
.Ltmp61:
	.loc	1 10 26                         ; persistent_matmul.py:10:26 @[ persistent_matmul.py:65:90 ]
	s_cselect_b32 s8, s12, s8
.Ltmp62:
	.loc	1 74 25                         ; persistent_matmul.py:74:25
	v_and_or_b32 v33, 0x800, v91, v33
.Ltmp63:
	.loc	1 10 26                         ; persistent_matmul.py:10:26 @[ persistent_matmul.py:65:90 ]
	s_xor_b32 s8, s8, s11
.Ltmp64:
	.loc	1 74 25                         ; persistent_matmul.py:74:25
	v_lshlrev_b32_e32 v37, 1, v90
.Ltmp65:
	.loc	1 10 26                         ; persistent_matmul.py:10:26 @[ persistent_matmul.py:65:90 ]
	s_sub_i32 s8, s8, s11
.Ltmp66:
	.loc	1 74 25                         ; persistent_matmul.py:74:25
	v_add3_u32 v34, 0, v34, v36
.Ltmp67:
	.loc	1 11 29                         ; persistent_matmul.py:11:29 @[ persistent_matmul.py:65:90 ]
	s_lshl_b32 s10, s8, 3
	.loc	1 14 23                         ; persistent_matmul.py:14:23 @[ persistent_matmul.py:65:90 ]
	s_mul_i32 s8, s8, s17
	.loc	1 12 35                         ; persistent_matmul.py:12:35 @[ persistent_matmul.py:65:90 ]
	s_sub_i32 s11, s14, s10
.Ltmp68:
	.loc	1 74 25                         ; persistent_matmul.py:74:25
	v_xad_u32 v36, v33, 32, 0
.Ltmp69:
	.loc	1 12 48                         ; persistent_matmul.py:12:48 @[ persistent_matmul.py:65:90 ]
	s_min_i32 s11, s11, 8
.Ltmp70:
	.loc	1 74 25                         ; persistent_matmul.py:74:25
	v_xad_u32 v38, v33, 64, 0
.Ltmp71:
	.loc	1 13 37                         ; persistent_matmul.py:13:37 @[ persistent_matmul.py:65:90 ]
	s_abs_i32 s12, s11
.Ltmp72:
	.loc	1 74 25                         ; persistent_matmul.py:74:25
	ds_store_b128 v36, v[24:27] offset:4096
	ds_store_b128 v36, v[20:23] offset:4224
.Ltmp73:
	.loc	1 13 37                         ; persistent_matmul.py:13:37 @[ persistent_matmul.py:65:90 ]
	v_cvt_f32_u32_e32 v32, s12
	s_sub_i32 s18, 0, s12
.Ltmp74:
	.loc	1 74 25                         ; persistent_matmul.py:74:25
	ds_store_b128 v38, v[16:19] offset:8192
	ds_store_b128 v38, v[12:15] offset:8320
	v_lshlrev_b32_e32 v35, 5, v213
.Ltmp75:
	.loc	1 13 37                         ; persistent_matmul.py:13:37 @[ persistent_matmul.py:65:90 ]
	v_rcp_iflag_f32_e32 v32, v32
	s_delay_alu instid0(VALU_DEP_1) | instskip(NEXT) | instid1(VALU_DEP_1)
.Ltmp76:
	.loc	1 74 25                         ; persistent_matmul.py:74:25
	v_xor_b32_e32 v35, v35, v92
	v_add3_u32 v34, v34, v37, v35
.Ltmp77:
	.loc	1 13 37                         ; persistent_matmul.py:13:37 @[ persistent_matmul.py:65:90 ]
	s_waitcnt_depctr depctr_va_vdst(0)
	v_mul_f32_e32 v32, 0x4f7ffffe, v32
	s_delay_alu instid0(VALU_DEP_1) | instskip(NEXT) | instid1(VALU_DEP_1)
	v_cvt_u32_f32_e32 v32, v32
	v_readfirstlane_b32 s13, v32
.Ltmp78:
	.loc	1 74 25                         ; persistent_matmul.py:74:25
	v_add_nc_u32_e32 v32, 0, v33
	v_xad_u32 v33, 0x60, v33, 0
	ds_store_b128 v32, v[0:3]
	ds_store_b128 v32, v[28:31] offset:128
.Ltmp79:
	.loc	1 13 37                         ; persistent_matmul.py:13:37 @[ persistent_matmul.py:65:90 ]
	s_mul_i32 s18, s18, s13
.Ltmp80:
	.loc	1 74 25                         ; persistent_matmul.py:74:25
	ds_store_b128 v33, v[8:11] offset:12288
	ds_store_b128 v33, v[4:7] offset:12416
.Ltmp81:
	.loc	1 13 37                         ; persistent_matmul.py:13:37 @[ persistent_matmul.py:65:90 ]
	s_mul_hi_u32 s18, s13, s18
.Ltmp82:
	.loc	1 74 25                         ; persistent_matmul.py:74:25
	s_waitcnt lgkmcnt(0)
.Ltmp83:
	.loc	1 13 37                         ; persistent_matmul.py:13:37 @[ persistent_matmul.py:65:90 ]
	s_add_i32 s13, s13, s18
.Ltmp84:
	.loc	1 74 25                         ; persistent_matmul.py:74:25
	s_barrier
.Ltmp85:
	.loc	1 13 37                         ; persistent_matmul.py:13:37 @[ persistent_matmul.py:65:90 ]
	s_mul_hi_u32 s18, s1, s13
.Ltmp86:
	.loc	1 74 25                         ; persistent_matmul.py:74:25
	buffer_gl0_inv
.Ltmp87:
	.loc	1 13 37                         ; persistent_matmul.py:13:37 @[ persistent_matmul.py:65:90 ]
	s_mul_i32 s18, s18, s12
.Ltmp88:
	.loc	1 74 25                         ; persistent_matmul.py:74:25
	ds_load_b128 v[28:31], v34
	ds_load_b128 v[24:27], v34 offset:256
.Ltmp89:
	.loc	1 13 37                         ; persistent_matmul.py:13:37 @[ persistent_matmul.py:65:90 ]
	s_sub_i32 s1, s1, s18
.Ltmp90:
	.loc	1 74 25                         ; persistent_matmul.py:74:25
	ds_load_b128 v[20:23], v34 offset:512
	ds_load_b128 v[16:19], v34 offset:768
.Ltmp91:
	.loc	1 13 37                         ; persistent_matmul.py:13:37 @[ persistent_matmul.py:65:90 ]
	s_sub_i32 s18, s1, s12
	s_cmp_ge_u32 s1, s12
.Ltmp92:
	.loc	1 74 25                         ; persistent_matmul.py:74:25
	ds_load_b128 v[12:15], v34 offset:1024
	ds_load_b128 v[8:11], v34 offset:1280
.Ltmp93:
	.loc	1 13 37                         ; persistent_matmul.py:13:37 @[ persistent_matmul.py:65:90 ]
	s_cselect_b32 s1, s18, s1
.Ltmp94:
	.loc	1 74 25                         ; persistent_matmul.py:74:25
	ds_load_b128 v[4:7], v34 offset:1536
	ds_load_b128 v[0:3], v34 offset:1792
.Ltmp95:
	.loc	1 13 37                         ; persistent_matmul.py:13:37 @[ persistent_matmul.py:65:90 ]
	s_sub_i32 s18, s1, s12
	s_cmp_ge_u32 s1, s12
	s_cselect_b32 s1, s18, s1
	.loc	1 14 23                         ; persistent_matmul.py:14:23 @[ persistent_matmul.py:65:90 ]
	s_sub_i32 s0, s0, s8
	.loc	1 13 37                         ; persistent_matmul.py:13:37 @[ persistent_matmul.py:65:90 ]
	s_xor_b32 s1, s1, s9
	.loc	1 14 44                         ; persistent_matmul.py:14:44 @[ persistent_matmul.py:65:90 ]
	s_xor_b32 s8, s0, s11
	s_abs_i32 s0, s0
	.loc	1 13 37                         ; persistent_matmul.py:13:37 @[ persistent_matmul.py:65:90 ]
	s_sub_i32 s1, s1, s9
	.loc	1 14 44                         ; persistent_matmul.py:14:44 @[ persistent_matmul.py:65:90 ]
	s_mul_hi_u32 s9, s0, s13
	s_ashr_i32 s8, s8, 31
	s_mul_i32 s11, s9, s12
	.loc	1 13 27                         ; persistent_matmul.py:13:27 @[ persistent_matmul.py:65:90 ]
	s_add_i32 s10, s10, s1
	.loc	1 14 44                         ; persistent_matmul.py:14:44 @[ persistent_matmul.py:65:90 ]
	s_sub_i32 s0, s0, s11
	s_add_i32 s1, s9, 1
	s_sub_i32 s11, s0, s12
	s_cmp_ge_u32 s0, s12
	s_cselect_b32 s1, s1, s9
	s_cselect_b32 s0, s11, s0
	s_add_i32 s9, s1, 1
	s_cmp_ge_u32 s0, s12
	s_cselect_b32 s0, s9, s1
.Ltmp96:
	.loc	1 66 26                         ; persistent_matmul.py:66:26
	s_lshl_b32 s1, s10, 6
.Ltmp97:
	.loc	1 14 44                         ; persistent_matmul.py:14:44 @[ persistent_matmul.py:65:90 ]
	s_xor_b32 s0, s0, s8
.Ltmp98:
	.loc	1 66 41                         ; persistent_matmul.py:66:41
	v_or_b32_e32 v34, s1, v177
.Ltmp99:
	.loc	1 14 44                         ; persistent_matmul.py:14:44 @[ persistent_matmul.py:65:90 ]
	s_sub_i32 s0, s0, s8
	s_delay_alu instid0(SALU_CYCLE_1) | instskip(NEXT) | instid1(VALU_DEP_2)
.Ltmp100:
	.loc	1 67 41                         ; persistent_matmul.py:67:41
	v_lshl_or_b32 v33, s0, 6, v209
	.loc	1 69 37                         ; persistent_matmul.py:69:37
	v_cmp_gt_i32_e64 s0, s6, v34
	s_delay_alu instid0(VALU_DEP_2) | instskip(SKIP_2) | instid1(VALU_DEP_2)
	.loc	1 68 68                         ; persistent_matmul.py:68:68
	v_mul_lo_u32 v32, v33, s3
	.loc	1 69 62                         ; persistent_matmul.py:69:62
	v_cmp_gt_i32_e32 vcc_lo, s7, v33
	.loc	1 69 43 is_stmt 0               ; persistent_matmul.py:69:43
	s_and_b32 s0, s0, vcc_lo
	.loc	1 68 56 is_stmt 1               ; persistent_matmul.py:68:56
	v_ashrrev_i32_e32 v33, 31, v32
	.loc	1 74 25                         ; persistent_matmul.py:74:25
	s_and_saveexec_b32 s8, s0
	s_cbranch_execz .LBB0_143
; %bb.142:
	.loc	1 0 25 is_stmt 0                ; persistent_matmul.py:0:25
	v_mul_lo_u32 v34, v34, s2
	s_delay_alu instid0(VALU_DEP_2) | instskip(NEXT) | instid1(VALU_DEP_2)
	v_lshlrev_b64 v[36:37], 2, v[32:33]
	v_ashrrev_i32_e32 v35, 31, v34
	s_delay_alu instid0(VALU_DEP_1) | instskip(NEXT) | instid1(VALU_DEP_1)
	v_lshlrev_b64 v[34:35], 2, v[34:35]
	v_add_co_u32 v34, s0, s4, v34
	s_delay_alu instid0(VALU_DEP_1) | instskip(NEXT) | instid1(VALU_DEP_2)
	v_add_co_ci_u32_e64 v35, null, s5, v35, s0
	v_add_co_u32 v34, s0, v34, v36
	s_delay_alu instid0(VALU_DEP_1)
	v_add_co_ci_u32_e64 v35, null, v35, v37, s0
	.loc	1 74 25                         ; persistent_matmul.py:74:25
	s_waitcnt lgkmcnt(7)
	global_store_b32 v[34:35], v28, off
.LBB0_143:
	.loc	1 0 25                          ; persistent_matmul.py:0:25
	s_or_b32 exec_lo, exec_lo, s8
	.loc	1 66 41 is_stmt 1               ; persistent_matmul.py:66:41
	s_waitcnt lgkmcnt(7)
	v_or_b32_e32 v28, s1, v178
	s_delay_alu instid0(VALU_DEP_1) | instskip(SKIP_1) | instid1(SALU_CYCLE_1)
	.loc	1 69 37                         ; persistent_matmul.py:69:37
	v_cmp_gt_i32_e64 s0, s6, v28
	.loc	1 69 43 is_stmt 0               ; persistent_matmul.py:69:43
	s_and_b32 s0, s0, vcc_lo
	.loc	1 74 25 is_stmt 1               ; persistent_matmul.py:74:25
	s_and_saveexec_b32 s8, s0
	s_cbranch_execz .LBB0_145
; %bb.144:
	.loc	1 68 37                         ; persistent_matmul.py:68:37
	v_mul_lo_u32 v34, v28, s2
	.loc	1 68 56 is_stmt 0               ; persistent_matmul.py:68:56
	v_lshlrev_b64 v[36:37], 2, v[32:33]
	s_delay_alu instid0(VALU_DEP_2) | instskip(NEXT) | instid1(VALU_DEP_1)
	.loc	1 68 25                         ; persistent_matmul.py:68:25
	v_ashrrev_i32_e32 v35, 31, v34
	v_lshlrev_b64 v[34:35], 2, v[34:35]
	s_delay_alu instid0(VALU_DEP_1) | instskip(NEXT) | instid1(VALU_DEP_1)
	v_add_co_u32 v28, s0, s4, v34
	v_add_co_ci_u32_e64 v35, null, s5, v35, s0
	s_delay_alu instid0(VALU_DEP_2) | instskip(NEXT) | instid1(VALU_DEP_1)
	.loc	1 68 56                         ; persistent_matmul.py:68:56
	v_add_co_u32 v34, s0, v28, v36
	v_add_co_ci_u32_e64 v35, null, v35, v37, s0
	.loc	1 74 25 is_stmt 1               ; persistent_matmul.py:74:25
	global_store_b32 v[34:35], v29, off
.LBB0_145:
	.loc	1 0 25 is_stmt 0                ; persistent_matmul.py:0:25
	s_or_b32 exec_lo, exec_lo, s8
	.loc	1 66 41 is_stmt 1               ; persistent_matmul.py:66:41
	v_or_b32_e32 v28, s1, v179
	s_delay_alu instid0(VALU_DEP_1) | instskip(SKIP_1) | instid1(SALU_CYCLE_1)
	.loc	1 69 37                         ; persistent_matmul.py:69:37
	v_cmp_gt_i32_e64 s0, s6, v28
	.loc	1 69 43 is_stmt 0               ; persistent_matmul.py:69:43
	s_and_b32 s0, s0, vcc_lo
	.loc	1 74 25 is_stmt 1               ; persistent_matmul.py:74:25
	s_and_saveexec_b32 s8, s0
	s_cbranch_execz .LBB0_147
; %bb.146:
	.loc	1 68 37                         ; persistent_matmul.py:68:37
	v_mul_lo_u32 v28, v28, s2
	.loc	1 68 56 is_stmt 0               ; persistent_matmul.py:68:56
	v_lshlrev_b64 v[34:35], 2, v[32:33]
	s_delay_alu instid0(VALU_DEP_2) | instskip(NEXT) | instid1(VALU_DEP_1)
	.loc	1 68 25                         ; persistent_matmul.py:68:25
	v_ashrrev_i32_e32 v29, 31, v28
	v_lshlrev_b64 v[28:29], 2, v[28:29]
	s_delay_alu instid0(VALU_DEP_1) | instskip(NEXT) | instid1(VALU_DEP_1)
	v_add_co_u32 v28, s0, s4, v28
	v_add_co_ci_u32_e64 v29, null, s5, v29, s0
	s_delay_alu instid0(VALU_DEP_2) | instskip(NEXT) | instid1(VALU_DEP_1)
	.loc	1 68 56                         ; persistent_matmul.py:68:56
	v_add_co_u32 v28, s0, v28, v34
	v_add_co_ci_u32_e64 v29, null, v29, v35, s0
	.loc	1 74 25 is_stmt 1               ; persistent_matmul.py:74:25
	s_waitcnt lgkmcnt(6)
	global_store_b32 v[28:29], v24, off
.LBB0_147:
	.loc	1 0 25 is_stmt 0                ; persistent_matmul.py:0:25
	s_or_b32 exec_lo, exec_lo, s8
	.loc	1 66 41 is_stmt 1               ; persistent_matmul.py:66:41
	s_waitcnt lgkmcnt(6)
	v_or_b32_e32 v24, s1, v180
	s_delay_alu instid0(VALU_DEP_1) | instskip(SKIP_1) | instid1(SALU_CYCLE_1)
	.loc	1 69 37                         ; persistent_matmul.py:69:37
	v_cmp_gt_i32_e64 s0, s6, v24
	.loc	1 69 43 is_stmt 0               ; persistent_matmul.py:69:43
	s_and_b32 s0, s0, vcc_lo
	.loc	1 74 25 is_stmt 1               ; persistent_matmul.py:74:25
	s_and_saveexec_b32 s8, s0
	s_cbranch_execz .LBB0_149
; %bb.148:
	.loc	1 68 37                         ; persistent_matmul.py:68:37
	v_mul_lo_u32 v28, v24, s2
	.loc	1 68 56 is_stmt 0               ; persistent_matmul.py:68:56
	v_lshlrev_b64 v[34:35], 2, v[32:33]
	s_delay_alu instid0(VALU_DEP_2) | instskip(NEXT) | instid1(VALU_DEP_1)
	.loc	1 68 25                         ; persistent_matmul.py:68:25
	v_ashrrev_i32_e32 v29, 31, v28
	v_lshlrev_b64 v[28:29], 2, v[28:29]
	s_delay_alu instid0(VALU_DEP_1) | instskip(NEXT) | instid1(VALU_DEP_1)
	v_add_co_u32 v24, s0, s4, v28
	v_add_co_ci_u32_e64 v29, null, s5, v29, s0
	s_delay_alu instid0(VALU_DEP_2) | instskip(NEXT) | instid1(VALU_DEP_1)
	.loc	1 68 56                         ; persistent_matmul.py:68:56
	v_add_co_u32 v28, s0, v24, v34
	v_add_co_ci_u32_e64 v29, null, v29, v35, s0
	.loc	1 74 25 is_stmt 1               ; persistent_matmul.py:74:25
	global_store_b32 v[28:29], v25, off
.LBB0_149:
	.loc	1 0 25 is_stmt 0                ; persistent_matmul.py:0:25
	s_or_b32 exec_lo, exec_lo, s8
	.loc	1 66 41 is_stmt 1               ; persistent_matmul.py:66:41
	v_or_b32_e32 v24, s1, v181
	s_delay_alu instid0(VALU_DEP_1) | instskip(SKIP_1) | instid1(SALU_CYCLE_1)
	.loc	1 69 37                         ; persistent_matmul.py:69:37
	v_cmp_gt_i32_e64 s0, s6, v24
	.loc	1 69 43 is_stmt 0               ; persistent_matmul.py:69:43
	s_and_b32 s0, s0, vcc_lo
	.loc	1 74 25 is_stmt 1               ; persistent_matmul.py:74:25
	s_and_saveexec_b32 s8, s0
	s_cbranch_execz .LBB0_151
; %bb.150:
	.loc	1 68 37                         ; persistent_matmul.py:68:37
	v_mul_lo_u32 v24, v24, s2
	.loc	1 68 56 is_stmt 0               ; persistent_matmul.py:68:56
	v_lshlrev_b64 v[28:29], 2, v[32:33]
	s_delay_alu instid0(VALU_DEP_2) | instskip(NEXT) | instid1(VALU_DEP_1)
	.loc	1 68 25                         ; persistent_matmul.py:68:25
	v_ashrrev_i32_e32 v25, 31, v24
	v_lshlrev_b64 v[24:25], 2, v[24:25]
	s_delay_alu instid0(VALU_DEP_1) | instskip(NEXT) | instid1(VALU_DEP_1)
	v_add_co_u32 v24, s0, s4, v24
	v_add_co_ci_u32_e64 v25, null, s5, v25, s0
	s_delay_alu instid0(VALU_DEP_2) | instskip(NEXT) | instid1(VALU_DEP_1)
	.loc	1 68 56                         ; persistent_matmul.py:68:56
	v_add_co_u32 v24, s0, v24, v28
	v_add_co_ci_u32_e64 v25, null, v25, v29, s0
	.loc	1 74 25 is_stmt 1               ; persistent_matmul.py:74:25
	s_waitcnt lgkmcnt(5)
	global_store_b32 v[24:25], v20, off
.LBB0_151:
	.loc	1 0 25 is_stmt 0                ; persistent_matmul.py:0:25
	;; [unrolled: 64-line block ×7, first 2 shown]
	s_or_b32 exec_lo, exec_lo, s8
	.loc	1 66 41 is_stmt 1               ; persistent_matmul.py:66:41
	s_waitcnt lgkmcnt(0)
	v_or_b32_e32 v0, s1, v192
	s_delay_alu instid0(VALU_DEP_1) | instskip(SKIP_1) | instid1(SALU_CYCLE_1)
	.loc	1 69 37                         ; persistent_matmul.py:69:37
	v_cmp_gt_i32_e64 s0, s6, v0
	.loc	1 69 43 is_stmt 0               ; persistent_matmul.py:69:43
	s_and_b32 s0, s0, vcc_lo
	.loc	1 74 25 is_stmt 1               ; persistent_matmul.py:74:25
	s_and_saveexec_b32 s8, s0
	s_cbranch_execz .LBB0_173
; %bb.172:
	.loc	1 68 37                         ; persistent_matmul.py:68:37
	v_mul_lo_u32 v4, v0, s2
	.loc	1 68 56 is_stmt 0               ; persistent_matmul.py:68:56
	v_lshlrev_b64 v[8:9], 2, v[32:33]
	s_delay_alu instid0(VALU_DEP_2) | instskip(NEXT) | instid1(VALU_DEP_1)
	.loc	1 68 25                         ; persistent_matmul.py:68:25
	v_ashrrev_i32_e32 v5, 31, v4
	v_lshlrev_b64 v[4:5], 2, v[4:5]
	s_delay_alu instid0(VALU_DEP_1) | instskip(NEXT) | instid1(VALU_DEP_1)
	v_add_co_u32 v0, s0, s4, v4
	v_add_co_ci_u32_e64 v5, null, s5, v5, s0
	s_delay_alu instid0(VALU_DEP_2) | instskip(NEXT) | instid1(VALU_DEP_1)
	.loc	1 68 56                         ; persistent_matmul.py:68:56
	v_add_co_u32 v4, s0, v0, v8
	v_add_co_ci_u32_e64 v5, null, v5, v9, s0
	.loc	1 74 25 is_stmt 1               ; persistent_matmul.py:74:25
	global_store_b32 v[4:5], v1, off
.LBB0_173:
	.loc	1 0 25 is_stmt 0                ; persistent_matmul.py:0:25
	s_or_b32 exec_lo, exec_lo, s8
	.loc	1 66 41 is_stmt 1               ; persistent_matmul.py:66:41
	v_or_b32_e32 v0, s1, v193
	s_delay_alu instid0(VALU_DEP_1) | instskip(SKIP_1) | instid1(SALU_CYCLE_1)
	.loc	1 69 37                         ; persistent_matmul.py:69:37
	v_cmp_gt_i32_e64 s0, s6, v0
	.loc	1 69 43 is_stmt 0               ; persistent_matmul.py:69:43
	s_and_b32 s0, s0, vcc_lo
	.loc	1 74 25 is_stmt 1               ; persistent_matmul.py:74:25
	s_and_saveexec_b32 s8, s0
	s_cbranch_execz .LBB0_175
; %bb.174:
	.loc	1 68 37                         ; persistent_matmul.py:68:37
	v_mul_lo_u32 v0, v0, s2
	.loc	1 68 56 is_stmt 0               ; persistent_matmul.py:68:56
	v_lshlrev_b64 v[4:5], 2, v[32:33]
	s_delay_alu instid0(VALU_DEP_2) | instskip(NEXT) | instid1(VALU_DEP_1)
	.loc	1 68 25                         ; persistent_matmul.py:68:25
	v_ashrrev_i32_e32 v1, 31, v0
	v_lshlrev_b64 v[0:1], 2, v[0:1]
	s_delay_alu instid0(VALU_DEP_1) | instskip(NEXT) | instid1(VALU_DEP_1)
	v_add_co_u32 v0, s0, s4, v0
	v_add_co_ci_u32_e64 v1, null, s5, v1, s0
	s_delay_alu instid0(VALU_DEP_2) | instskip(NEXT) | instid1(VALU_DEP_1)
	.loc	1 68 56                         ; persistent_matmul.py:68:56
	v_add_co_u32 v0, s0, v0, v4
	v_add_co_ci_u32_e64 v1, null, v1, v5, s0
	.loc	1 74 25 is_stmt 1               ; persistent_matmul.py:74:25
	global_store_b32 v[0:1], v30, off
.LBB0_175:
	.loc	1 0 25 is_stmt 0                ; persistent_matmul.py:0:25
	s_or_b32 exec_lo, exec_lo, s8
	.loc	1 66 41 is_stmt 1               ; persistent_matmul.py:66:41
	;; [unrolled: 31-line block ×16, first 2 shown]
	v_or_b32_e32 v0, s1, v208
	s_delay_alu instid0(VALU_DEP_1) | instskip(SKIP_1) | instid1(SALU_CYCLE_1)
	.loc	1 69 37                         ; persistent_matmul.py:69:37
	v_cmp_gt_i32_e64 s0, s6, v0
	.loc	1 69 43 is_stmt 0               ; persistent_matmul.py:69:43
	s_and_b32 s1, s0, vcc_lo
	.loc	1 74 25 is_stmt 1               ; persistent_matmul.py:74:25
	s_and_saveexec_b32 s0, s1
	s_cbranch_execz .LBB0_205
; %bb.204:
	.loc	1 68 37                         ; persistent_matmul.py:68:37
	v_mul_lo_u32 v0, v0, s2
	.loc	1 68 56 is_stmt 0               ; persistent_matmul.py:68:56
	v_lshlrev_b64 v[4:5], 2, v[32:33]
	s_delay_alu instid0(VALU_DEP_2) | instskip(NEXT) | instid1(VALU_DEP_1)
	.loc	1 68 25                         ; persistent_matmul.py:68:25
	v_ashrrev_i32_e32 v1, 31, v0
	v_lshlrev_b64 v[0:1], 2, v[0:1]
	s_delay_alu instid0(VALU_DEP_1) | instskip(NEXT) | instid1(VALU_DEP_1)
	v_add_co_u32 v0, vcc_lo, s4, v0
	v_add_co_ci_u32_e64 v1, null, s5, v1, vcc_lo
	s_delay_alu instid0(VALU_DEP_2) | instskip(NEXT) | instid1(VALU_DEP_1)
	.loc	1 68 56                         ; persistent_matmul.py:68:56
	v_add_co_u32 v0, vcc_lo, v0, v4
	v_add_co_ci_u32_e64 v1, null, v1, v5, vcc_lo
	.loc	1 74 25 is_stmt 1               ; persistent_matmul.py:74:25
	global_store_b32 v[0:1], v3, off
.LBB0_205:                              ; %Flow
	.loc	1 0 25 is_stmt 0                ; persistent_matmul.py:0:25
	s_or_b32 exec_lo, exec_lo, s0
.LBB0_206:                              ; %Flow193
	s_mov_b32 s8, 0
.LBB0_207:                              ; %Flow199
	s_delay_alu instid0(SALU_CYCLE_1)
	s_and_b32 vcc_lo, exec_lo, s8
	s_cbranch_vccz .LBB0_275
; %bb.208:                              ; %.preheader
	.loc	1 43 59 is_stmt 1               ; persistent_matmul.py:43:59
	s_cmp_le_i32 s16, s15
	s_cbranch_scc1 .LBB0_275
; %bb.209:                              ; %.lr.ph11.preheader
	.loc	1 0 59 is_stmt 0                ; persistent_matmul.py:0:59
	s_abs_i32 s1, s17
	v_mov_b32_e32 v2, 0
	v_cvt_f32_u32_e32 v0, s1
	s_sub_i32 s8, 0, s1
.Ltmp101:
	.loc	1 14 44 is_stmt 1               ; persistent_matmul.py:14:44 @[ persistent_matmul.py:65:90 ]
	s_sub_i32 s10, 0, s17
	s_delay_alu instid0(VALU_DEP_1) | instskip(SKIP_2) | instid1(VALU_DEP_1)
	v_rcp_iflag_f32_e32 v0, v0
	s_waitcnt_depctr depctr_va_vdst(0)
	v_mul_f32_e32 v0, 0x4f7ffffe, v0
	v_cvt_u32_f32_e32 v0, v0
	s_delay_alu instid0(VALU_DEP_1) | instskip(SKIP_1) | instid1(SALU_CYCLE_1)
	v_readfirstlane_b32 s0, v0
	s_mul_i32 s8, s8, s0
	s_mul_hi_u32 s9, s0, s8
	s_ashr_i32 s8, s17, 31
	s_add_i32 s9, s0, s9
	s_branch .LBB0_211
.Ltmp102:
.LBB0_210:                              ;   in Loop: Header=BB0_211 Depth=1
	.loc	1 0 44 is_stmt 0                ; persistent_matmul.py:0:44
	s_or_b32 exec_lo, exec_lo, s0
	.loc	1 43 59 is_stmt 1               ; persistent_matmul.py:43:59
	s_addk_i32 s15, 0x68
	s_delay_alu instid0(SALU_CYCLE_1)
	s_cmp_ge_i32 s15, s16
	s_cbranch_scc1 .LBB0_275
.LBB0_211:                              ; %.lr.ph11
                                        ; =>This Inner Loop Header: Depth=1
.Ltmp103:
	.loc	1 10 26                         ; persistent_matmul.py:10:26 @[ persistent_matmul.py:65:90 ]
	s_abs_i32 s0, s15
	s_ashr_i32 s12, s15, 31
	s_mul_hi_u32 s11, s0, s9
	s_xor_b32 s18, s12, s8
	s_mul_i32 s13, s11, s1
	s_add_i32 s19, s11, 1
	s_sub_i32 s13, s0, s13
	s_delay_alu instid0(SALU_CYCLE_1)
	s_sub_i32 s20, s13, s1
	s_cmp_ge_u32 s13, s1
	s_cselect_b32 s11, s19, s11
	s_cselect_b32 s13, s20, s13
	s_add_i32 s19, s11, 1
	s_cmp_ge_u32 s13, s1
	s_cselect_b32 s11, s19, s11
	s_delay_alu instid0(SALU_CYCLE_1) | instskip(NEXT) | instid1(SALU_CYCLE_1)
	s_xor_b32 s11, s11, s18
	s_sub_i32 s11, s11, s18
	s_delay_alu instid0(SALU_CYCLE_1) | instskip(SKIP_4) | instid1(SALU_CYCLE_1)
	.loc	1 11 29                         ; persistent_matmul.py:11:29 @[ persistent_matmul.py:65:90 ]
	s_lshl_b32 s13, s11, 3
	.loc	1 14 44                         ; persistent_matmul.py:14:44 @[ persistent_matmul.py:65:90 ]
	s_mul_i32 s22, s10, s11
	.loc	1 12 35                         ; persistent_matmul.py:12:35 @[ persistent_matmul.py:65:90 ]
	s_sub_i32 s18, s14, s13
	.loc	1 14 23                         ; persistent_matmul.py:14:23 @[ persistent_matmul.py:65:90 ]
	s_mul_i32 s11, s11, s17
	.loc	1 12 48                         ; persistent_matmul.py:12:48 @[ persistent_matmul.py:65:90 ]
	s_min_i32 s18, s18, 8
	.loc	1 13 37                         ; persistent_matmul.py:13:37 @[ persistent_matmul.py:65:90 ]
	s_abs_i32 s19, s18
	s_ashr_i32 s18, s18, 31
	v_cvt_f32_u32_e32 v0, s19
	s_sub_i32 s21, 0, s19
	s_delay_alu instid0(VALU_DEP_1) | instskip(SKIP_2) | instid1(VALU_DEP_1)
	v_rcp_iflag_f32_e32 v0, v0
	s_waitcnt_depctr depctr_va_vdst(0)
	v_mul_f32_e32 v0, 0x4f7ffffe, v0
	v_cvt_u32_f32_e32 v0, v0
	s_delay_alu instid0(VALU_DEP_1) | instskip(SKIP_1) | instid1(SALU_CYCLE_1)
	v_readfirstlane_b32 s20, v0
	s_mul_i32 s21, s21, s20
	s_mul_hi_u32 s21, s20, s21
	s_delay_alu instid0(SALU_CYCLE_1) | instskip(NEXT) | instid1(SALU_CYCLE_1)
	s_add_i32 s20, s20, s21
	s_mul_hi_u32 s21, s0, s20
	s_delay_alu instid0(SALU_CYCLE_1) | instskip(NEXT) | instid1(SALU_CYCLE_1)
	s_mul_i32 s21, s21, s19
	s_sub_i32 s0, s0, s21
	s_delay_alu instid0(SALU_CYCLE_1) | instskip(SKIP_2) | instid1(SALU_CYCLE_1)
	s_sub_i32 s21, s0, s19
	s_cmp_ge_u32 s0, s19
	s_cselect_b32 s0, s21, s0
	s_sub_i32 s21, s0, s19
	s_cmp_ge_u32 s0, s19
	s_cselect_b32 s0, s21, s0
	.loc	1 14 44                         ; persistent_matmul.py:14:44 @[ persistent_matmul.py:65:90 ]
	s_add_i32 s21, s15, s22
	.loc	1 13 37                         ; persistent_matmul.py:13:37 @[ persistent_matmul.py:65:90 ]
	s_xor_b32 s0, s0, s12
	.loc	1 14 44                         ; persistent_matmul.py:14:44 @[ persistent_matmul.py:65:90 ]
	s_ashr_i32 s21, s21, 31
	.loc	1 13 37                         ; persistent_matmul.py:13:37 @[ persistent_matmul.py:65:90 ]
	s_sub_i32 s0, s0, s12
	.loc	1 14 44                         ; persistent_matmul.py:14:44 @[ persistent_matmul.py:65:90 ]
	s_sub_i32 s11, s21, s11
	.loc	1 13 27                         ; persistent_matmul.py:13:27 @[ persistent_matmul.py:65:90 ]
	s_add_i32 s13, s13, s0
	.loc	1 14 44                         ; persistent_matmul.py:14:44 @[ persistent_matmul.py:65:90 ]
	s_add_i32 s11, s15, s11
	s_xor_b32 s18, s21, s18
	s_xor_b32 s11, s11, s21
	s_delay_alu instid0(SALU_CYCLE_1) | instskip(NEXT) | instid1(SALU_CYCLE_1)
	s_mul_hi_u32 s12, s11, s20
	s_mul_i32 s0, s12, s19
	s_delay_alu instid0(SALU_CYCLE_1)
	s_sub_i32 s0, s11, s0
	s_add_i32 s11, s12, 1
	s_sub_i32 s20, s0, s19
	s_cmp_ge_u32 s0, s19
	s_cselect_b32 s11, s11, s12
	s_cselect_b32 s0, s20, s0
	s_add_i32 s12, s11, 1
	s_cmp_ge_u32 s0, s19
	s_cselect_b32 s0, s12, s11
.Ltmp104:
	.loc	1 66 26                         ; persistent_matmul.py:66:26
	s_lshl_b32 s11, s13, 6
.Ltmp105:
	.loc	1 14 44                         ; persistent_matmul.py:14:44 @[ persistent_matmul.py:65:90 ]
	s_xor_b32 s0, s0, s18
.Ltmp106:
	.loc	1 66 41                         ; persistent_matmul.py:66:41
	v_or_b32_e32 v3, s11, v177
.Ltmp107:
	.loc	1 14 44                         ; persistent_matmul.py:14:44 @[ persistent_matmul.py:65:90 ]
	s_sub_i32 s0, s0, s18
	s_delay_alu instid0(SALU_CYCLE_1) | instskip(NEXT) | instid1(VALU_DEP_2)
.Ltmp108:
	.loc	1 67 41                         ; persistent_matmul.py:67:41
	v_lshl_or_b32 v1, s0, 6, v209
	.loc	1 69 37                         ; persistent_matmul.py:69:37
	v_cmp_gt_i32_e64 s0, s6, v3
	s_delay_alu instid0(VALU_DEP_2) | instskip(SKIP_2) | instid1(VALU_DEP_2)
	.loc	1 68 68                         ; persistent_matmul.py:68:68
	v_mul_lo_u32 v0, v1, s3
	.loc	1 69 62                         ; persistent_matmul.py:69:62
	v_cmp_gt_i32_e32 vcc_lo, s7, v1
	.loc	1 69 43 is_stmt 0               ; persistent_matmul.py:69:43
	s_and_b32 s0, s0, vcc_lo
	.loc	1 68 56 is_stmt 1               ; persistent_matmul.py:68:56
	v_ashrrev_i32_e32 v1, 31, v0
	.loc	1 74 25                         ; persistent_matmul.py:74:25
	s_and_saveexec_b32 s12, s0
	s_cbranch_execz .LBB0_213
; %bb.212:                              ;   in Loop: Header=BB0_211 Depth=1
	.loc	1 0 25 is_stmt 0                ; persistent_matmul.py:0:25
	v_mul_lo_u32 v3, v3, s2
	s_delay_alu instid0(VALU_DEP_2) | instskip(NEXT) | instid1(VALU_DEP_2)
	v_lshlrev_b64 v[5:6], 2, v[0:1]
	v_ashrrev_i32_e32 v4, 31, v3
	s_delay_alu instid0(VALU_DEP_1) | instskip(NEXT) | instid1(VALU_DEP_1)
	v_lshlrev_b64 v[3:4], 2, v[3:4]
	v_add_co_u32 v3, s0, s4, v3
	s_delay_alu instid0(VALU_DEP_1) | instskip(NEXT) | instid1(VALU_DEP_2)
	v_add_co_ci_u32_e64 v4, null, s5, v4, s0
	v_add_co_u32 v3, s0, v3, v5
	s_delay_alu instid0(VALU_DEP_1)
	v_add_co_ci_u32_e64 v4, null, v4, v6, s0
	.loc	1 74 25                         ; persistent_matmul.py:74:25
	global_store_b32 v[3:4], v2, off
.LBB0_213:                              ;   in Loop: Header=BB0_211 Depth=1
	.loc	1 0 25                          ; persistent_matmul.py:0:25
	s_or_b32 exec_lo, exec_lo, s12
	.loc	1 66 41 is_stmt 1               ; persistent_matmul.py:66:41
	v_or_b32_e32 v3, s11, v178
	s_delay_alu instid0(VALU_DEP_1) | instskip(SKIP_1) | instid1(SALU_CYCLE_1)
	.loc	1 69 37                         ; persistent_matmul.py:69:37
	v_cmp_gt_i32_e64 s0, s6, v3
	.loc	1 69 43 is_stmt 0               ; persistent_matmul.py:69:43
	s_and_b32 s0, s0, vcc_lo
	.loc	1 74 25 is_stmt 1               ; persistent_matmul.py:74:25
	s_and_saveexec_b32 s12, s0
	s_cbranch_execz .LBB0_215
; %bb.214:                              ;   in Loop: Header=BB0_211 Depth=1
	.loc	1 68 37                         ; persistent_matmul.py:68:37
	v_mul_lo_u32 v3, v3, s2
	.loc	1 68 56 is_stmt 0               ; persistent_matmul.py:68:56
	v_lshlrev_b64 v[5:6], 2, v[0:1]
	s_delay_alu instid0(VALU_DEP_2) | instskip(NEXT) | instid1(VALU_DEP_1)
	.loc	1 68 25                         ; persistent_matmul.py:68:25
	v_ashrrev_i32_e32 v4, 31, v3
	v_lshlrev_b64 v[3:4], 2, v[3:4]
	s_delay_alu instid0(VALU_DEP_1) | instskip(NEXT) | instid1(VALU_DEP_1)
	v_add_co_u32 v3, s0, s4, v3
	v_add_co_ci_u32_e64 v4, null, s5, v4, s0
	s_delay_alu instid0(VALU_DEP_2) | instskip(NEXT) | instid1(VALU_DEP_1)
	.loc	1 68 56                         ; persistent_matmul.py:68:56
	v_add_co_u32 v3, s0, v3, v5
	v_add_co_ci_u32_e64 v4, null, v4, v6, s0
	.loc	1 74 25 is_stmt 1               ; persistent_matmul.py:74:25
	global_store_b32 v[3:4], v2, off
.LBB0_215:                              ;   in Loop: Header=BB0_211 Depth=1
	.loc	1 0 25 is_stmt 0                ; persistent_matmul.py:0:25
	s_or_b32 exec_lo, exec_lo, s12
	.loc	1 66 41 is_stmt 1               ; persistent_matmul.py:66:41
	v_or_b32_e32 v3, s11, v179
	s_delay_alu instid0(VALU_DEP_1) | instskip(SKIP_1) | instid1(SALU_CYCLE_1)
	.loc	1 69 37                         ; persistent_matmul.py:69:37
	v_cmp_gt_i32_e64 s0, s6, v3
	.loc	1 69 43 is_stmt 0               ; persistent_matmul.py:69:43
	s_and_b32 s0, s0, vcc_lo
	.loc	1 74 25 is_stmt 1               ; persistent_matmul.py:74:25
	s_and_saveexec_b32 s12, s0
	s_cbranch_execz .LBB0_217
; %bb.216:                              ;   in Loop: Header=BB0_211 Depth=1
	.loc	1 68 37                         ; persistent_matmul.py:68:37
	v_mul_lo_u32 v3, v3, s2
	.loc	1 68 56 is_stmt 0               ; persistent_matmul.py:68:56
	v_lshlrev_b64 v[5:6], 2, v[0:1]
	s_delay_alu instid0(VALU_DEP_2) | instskip(NEXT) | instid1(VALU_DEP_1)
	.loc	1 68 25                         ; persistent_matmul.py:68:25
	v_ashrrev_i32_e32 v4, 31, v3
	v_lshlrev_b64 v[3:4], 2, v[3:4]
	s_delay_alu instid0(VALU_DEP_1) | instskip(NEXT) | instid1(VALU_DEP_1)
	v_add_co_u32 v3, s0, s4, v3
	v_add_co_ci_u32_e64 v4, null, s5, v4, s0
	s_delay_alu instid0(VALU_DEP_2) | instskip(NEXT) | instid1(VALU_DEP_1)
	.loc	1 68 56                         ; persistent_matmul.py:68:56
	v_add_co_u32 v3, s0, v3, v5
	v_add_co_ci_u32_e64 v4, null, v4, v6, s0
	.loc	1 74 25 is_stmt 1               ; persistent_matmul.py:74:25
	global_store_b32 v[3:4], v2, off
.LBB0_217:                              ;   in Loop: Header=BB0_211 Depth=1
	.loc	1 0 25 is_stmt 0                ; persistent_matmul.py:0:25
	;; [unrolled: 31-line block ×30, first 2 shown]
	s_or_b32 exec_lo, exec_lo, s12
	.loc	1 66 41 is_stmt 1               ; persistent_matmul.py:66:41
	v_or_b32_e32 v3, s11, v208
	s_delay_alu instid0(VALU_DEP_1) | instskip(SKIP_1) | instid1(SALU_CYCLE_1)
	.loc	1 69 37                         ; persistent_matmul.py:69:37
	v_cmp_gt_i32_e64 s0, s6, v3
	.loc	1 69 43 is_stmt 0               ; persistent_matmul.py:69:43
	s_and_b32 s11, s0, vcc_lo
	.loc	1 74 25 is_stmt 1               ; persistent_matmul.py:74:25
	s_and_saveexec_b32 s0, s11
	s_cbranch_execz .LBB0_210
; %bb.274:                              ;   in Loop: Header=BB0_211 Depth=1
	.loc	1 68 37                         ; persistent_matmul.py:68:37
	v_mul_lo_u32 v3, v3, s2
	.loc	1 68 56 is_stmt 0               ; persistent_matmul.py:68:56
	v_lshlrev_b64 v[0:1], 2, v[0:1]
	s_delay_alu instid0(VALU_DEP_2) | instskip(NEXT) | instid1(VALU_DEP_1)
	.loc	1 68 25                         ; persistent_matmul.py:68:25
	v_ashrrev_i32_e32 v4, 31, v3
	v_lshlrev_b64 v[3:4], 2, v[3:4]
	s_delay_alu instid0(VALU_DEP_1) | instskip(NEXT) | instid1(VALU_DEP_1)
	v_add_co_u32 v3, vcc_lo, s4, v3
	v_add_co_ci_u32_e64 v4, null, s5, v4, vcc_lo
	s_delay_alu instid0(VALU_DEP_2) | instskip(NEXT) | instid1(VALU_DEP_1)
	.loc	1 68 56                         ; persistent_matmul.py:68:56
	v_add_co_u32 v0, vcc_lo, v3, v0
	v_add_co_ci_u32_e64 v1, null, v4, v1, vcc_lo
	.loc	1 74 25 is_stmt 1               ; persistent_matmul.py:74:25
	global_store_b32 v[0:1], v2, off
	s_branch .LBB0_210
.LBB0_275:                              ; %.loopexit
	.loc	1 43 4                          ; persistent_matmul.py:43:4
	s_nop 0
	s_sendmsg sendmsg(MSG_DEALLOC_VGPRS)
	s_endpgm
.Ltmp109:
	.section	.rodata,"a",@progbits
	.p2align	6, 0x0
	.amdhsa_kernel matmul_kernel_persistent
		.amdhsa_group_segment_fixed_size 0
		.amdhsa_private_segment_fixed_size 16
		.amdhsa_kernarg_size 80
		.amdhsa_user_sgpr_count 15
		.amdhsa_user_sgpr_dispatch_ptr 0
		.amdhsa_user_sgpr_queue_ptr 0
		.amdhsa_user_sgpr_kernarg_segment_ptr 1
		.amdhsa_user_sgpr_dispatch_id 0
		.amdhsa_user_sgpr_private_segment_size 0
		.amdhsa_wavefront_size32 1
		.amdhsa_uses_dynamic_stack 0
		.amdhsa_enable_private_segment 1
		.amdhsa_system_sgpr_workgroup_id_x 1
		.amdhsa_system_sgpr_workgroup_id_y 0
		.amdhsa_system_sgpr_workgroup_id_z 0
		.amdhsa_system_sgpr_workgroup_info 0
		.amdhsa_system_vgpr_workitem_id 0
		.amdhsa_next_free_vgpr 256
		.amdhsa_next_free_sgpr 40
		.amdhsa_reserve_vcc 1
		.amdhsa_float_round_mode_32 0
		.amdhsa_float_round_mode_16_64 0
		.amdhsa_float_denorm_mode_32 3
		.amdhsa_float_denorm_mode_16_64 3
		.amdhsa_dx10_clamp 1
		.amdhsa_ieee_mode 1
		.amdhsa_fp16_overflow 0
		.amdhsa_workgroup_processor_mode 1
		.amdhsa_memory_ordered 1
		.amdhsa_forward_progress 1
		.amdhsa_shared_vgpr_count 0
		.amdhsa_inst_pref_size 63
		.amdhsa_exception_fp_ieee_invalid_op 0
		.amdhsa_exception_fp_denorm_src 0
		.amdhsa_exception_fp_ieee_div_zero 0
		.amdhsa_exception_fp_ieee_overflow 0
		.amdhsa_exception_fp_ieee_underflow 0
		.amdhsa_exception_fp_ieee_inexact 0
		.amdhsa_exception_int_div_zero 0
	.end_amdhsa_kernel
	.text
.Lfunc_end0:
	.size	matmul_kernel_persistent, .Lfunc_end0-matmul_kernel_persistent
	.cfi_endproc
                                        ; -- End function
	.set matmul_kernel_persistent.num_vgpr, 256
	.set matmul_kernel_persistent.num_agpr, 0
	.set matmul_kernel_persistent.numbered_sgpr, 40
	.set matmul_kernel_persistent.num_named_barrier, 0
	.set matmul_kernel_persistent.private_seg_size, 16
	.set matmul_kernel_persistent.uses_vcc, 1
	.set matmul_kernel_persistent.uses_flat_scratch, 1
	.set matmul_kernel_persistent.has_dyn_sized_stack, 0
	.set matmul_kernel_persistent.has_recursion, 0
	.set matmul_kernel_persistent.has_indirect_call, 0
	.section	.AMDGPU.csdata,"",@progbits
; Kernel info:
; codeLenInByte = 22776
; TotalNumSgprs: 42
; NumVgprs: 256
; ScratchSize: 16
; MemoryBound: 0
; FloatMode: 240
; IeeeMode: 1
; LDSByteSize: 0 bytes/workgroup (compile time only)
; SGPRBlocks: 0
; VGPRBlocks: 31
; NumSGPRsForWavesPerEU: 42
; NumVGPRsForWavesPerEU: 256
; Occupancy: 5
; WaveLimiterHint : 0
; COMPUTE_PGM_RSRC2:SCRATCH_EN: 1
; COMPUTE_PGM_RSRC2:USER_SGPR: 15
; COMPUTE_PGM_RSRC2:TRAP_HANDLER: 0
; COMPUTE_PGM_RSRC2:TGID_X_EN: 1
; COMPUTE_PGM_RSRC2:TGID_Y_EN: 0
; COMPUTE_PGM_RSRC2:TGID_Z_EN: 0
; COMPUTE_PGM_RSRC2:TIDIG_COMP_CNT: 0
	.text
	.p2alignl 7, 3214868480
	.fill 96, 4, 3214868480
	.section	.AMDGPU.gpr_maximums,"",@progbits
	.set amdgpu.max_num_vgpr, 0
	.set amdgpu.max_num_agpr, 0
	.set amdgpu.max_num_sgpr, 0
	.set amdgpu.max_num_named_barrier, 0
	.text
	.section	.debug_abbrev,"",@progbits
	.byte	1                               ; Abbreviation Code
	.byte	17                              ; DW_TAG_compile_unit
	.byte	1                               ; DW_CHILDREN_yes
	.byte	37                              ; DW_AT_producer
	.byte	14                              ; DW_FORM_strp
	.byte	19                              ; DW_AT_language
	.byte	5                               ; DW_FORM_data2
	.byte	3                               ; DW_AT_name
	.byte	14                              ; DW_FORM_strp
	.byte	16                              ; DW_AT_stmt_list
	.byte	23                              ; DW_FORM_sec_offset
	.byte	27                              ; DW_AT_comp_dir
	.byte	14                              ; DW_FORM_strp
	.byte	17                              ; DW_AT_low_pc
	.byte	1                               ; DW_FORM_addr
	.byte	18                              ; DW_AT_high_pc
	.byte	6                               ; DW_FORM_data4
	.byte	0                               ; EOM(1)
	.byte	0                               ; EOM(2)
	.byte	2                               ; Abbreviation Code
	.byte	46                              ; DW_TAG_subprogram
	.byte	0                               ; DW_CHILDREN_no
	.byte	3                               ; DW_AT_name
	.byte	14                              ; DW_FORM_strp
	.byte	32                              ; DW_AT_inline
	.byte	11                              ; DW_FORM_data1
	.byte	0                               ; EOM(1)
	.byte	0                               ; EOM(2)
	.byte	3                               ; Abbreviation Code
	.byte	46                              ; DW_TAG_subprogram
	.byte	1                               ; DW_CHILDREN_yes
	.byte	17                              ; DW_AT_low_pc
	.byte	1                               ; DW_FORM_addr
	.byte	18                              ; DW_AT_high_pc
	.byte	6                               ; DW_FORM_data4
	.byte	49                              ; DW_AT_abstract_origin
	.byte	19                              ; DW_FORM_ref4
	.byte	0                               ; EOM(1)
	.byte	0                               ; EOM(2)
	.byte	4                               ; Abbreviation Code
	.byte	29                              ; DW_TAG_inlined_subroutine
	.byte	0                               ; DW_CHILDREN_no
	.byte	49                              ; DW_AT_abstract_origin
	.byte	19                              ; DW_FORM_ref4
	.byte	85                              ; DW_AT_ranges
	.byte	23                              ; DW_FORM_sec_offset
	.byte	88                              ; DW_AT_call_file
	.byte	11                              ; DW_FORM_data1
	.byte	89                              ; DW_AT_call_line
	.byte	11                              ; DW_FORM_data1
	.byte	87                              ; DW_AT_call_column
	.byte	11                              ; DW_FORM_data1
	.byte	0                               ; EOM(1)
	.byte	0                               ; EOM(2)
	;; [unrolled: 1-line block ×3, first 2 shown]
	.section	.debug_info,"",@progbits
.Lcu_begin0:
	.long	.Ldebug_info_end0-.Ldebug_info_start0 ; Length of Unit
.Ldebug_info_start0:
	.short	4                               ; DWARF version number
	.long	.debug_abbrev                   ; Offset Into Abbrev. Section
	.byte	8                               ; Address Size (in bytes)
	.byte	1                               ; Abbrev [1] 0xb:0x74 DW_TAG_compile_unit
	.long	.Linfo_string0                  ; DW_AT_producer
	.short	2                               ; DW_AT_language
	.long	.Linfo_string1                  ; DW_AT_name
	.long	.Lline_table_start0             ; DW_AT_stmt_list
	.long	.Linfo_string2                  ; DW_AT_comp_dir
	.quad	.Lfunc_begin0                   ; DW_AT_low_pc
	.long	.Lfunc_end0-.Lfunc_begin0       ; DW_AT_high_pc
	.byte	2                               ; Abbrev [2] 0x2a:0x6 DW_TAG_subprogram
	.long	.Linfo_string3                  ; DW_AT_name
	.byte	1                               ; DW_AT_inline
	.byte	3                               ; Abbrev [3] 0x30:0x4e DW_TAG_subprogram
	.quad	.Lfunc_begin0                   ; DW_AT_low_pc
	.long	.Lfunc_end0-.Lfunc_begin0       ; DW_AT_high_pc
	.long	42                              ; DW_AT_abstract_origin
	.byte	4                               ; Abbrev [4] 0x41:0xc DW_TAG_inlined_subroutine
	.long	42                              ; DW_AT_abstract_origin
	.long	.Ldebug_ranges0                 ; DW_AT_ranges
	.byte	1                               ; DW_AT_call_file
	.byte	31                              ; DW_AT_call_line
	.byte	27                              ; DW_AT_call_column
	.byte	4                               ; Abbrev [4] 0x4d:0xc DW_TAG_inlined_subroutine
	.long	42                              ; DW_AT_abstract_origin
	.long	.Ldebug_ranges1                 ; DW_AT_ranges
	.byte	1                               ; DW_AT_call_file
	.byte	32                              ; DW_AT_call_line
	.byte	27                              ; DW_AT_call_column
	;; [unrolled: 6-line block ×5, first 2 shown]
	.byte	0                               ; End Of Children Mark
	.byte	0                               ; End Of Children Mark
.Ldebug_info_end0:
	.section	.debug_ranges,"",@progbits
.Ldebug_ranges0:
	.quad	.Ltmp1-.Lfunc_begin0
	.quad	.Ltmp2-.Lfunc_begin0
	;; [unrolled: 1-line block ×10, first 2 shown]
	.quad	0
	.quad	0
.Ldebug_ranges1:
	.quad	.Ltmp2-.Lfunc_begin0
	.quad	.Ltmp3-.Lfunc_begin0
	;; [unrolled: 1-line block ×10, first 2 shown]
	.quad	0
	.quad	0
.Ldebug_ranges2:
	.quad	.Ltmp13-.Lfunc_begin0
	.quad	.Ltmp14-.Lfunc_begin0
	;; [unrolled: 1-line block ×10, first 2 shown]
	.quad	0
	.quad	0
.Ldebug_ranges3:
	.quad	.Ltmp23-.Lfunc_begin0
	.quad	.Ltmp24-.Lfunc_begin0
	;; [unrolled: 1-line block ×10, first 2 shown]
	.quad	0
	.quad	0
.Ldebug_ranges4:
	.quad	.Ltmp33-.Lfunc_begin0
	.quad	.Ltmp34-.Lfunc_begin0
	;; [unrolled: 1-line block ×76, first 2 shown]
	.quad	0
	.quad	0
	.section	.debug_str,"MS",@progbits,1
.Linfo_string0:
	.asciz	"triton"                        ; string offset=0
.Linfo_string1:
	.asciz	"persistent_matmul.py"          ; string offset=7
.Linfo_string2:
	.asciz	"/root/src/amdgpu-assembly/repos/triton-lang__triton-aot" ; string offset=28
.Linfo_string3:
	.asciz	"matmul_kernel_persistent"      ; string offset=84
	.section	".note.GNU-stack","",@progbits
	.amdgpu_metadata
---
amdhsa.kernels:
  - .args:
      - .address_space:  global
        .offset:         0
        .size:           8
        .value_kind:     global_buffer
      - .address_space:  global
        .offset:         8
        .size:           8
        .value_kind:     global_buffer
      - .address_space:  global
        .offset:         16
        .size:           8
        .value_kind:     global_buffer
      - .offset:         24
        .size:           4
        .value_kind:     by_value
      - .offset:         28
        .size:           4
        .value_kind:     by_value
      - .offset:         32
        .size:           4
        .value_kind:     by_value
      - .offset:         36
        .size:           4
        .value_kind:     by_value
      - .offset:         40
        .size:           4
        .value_kind:     by_value
      - .offset:         44
        .size:           4
        .value_kind:     by_value
      - .offset:         48
        .size:           4
        .value_kind:     by_value
      - .offset:         52
        .size:           4
        .value_kind:     by_value
      - .offset:         56
        .size:           4
        .value_kind:     by_value
      - .address_space:  global
        .offset:         64
        .size:           8
        .value_kind:     global_buffer
      - .address_space:  global
        .offset:         72
        .size:           8
        .value_kind:     global_buffer
    .group_segment_fixed_size: 0
    .kernarg_segment_align: 8
    .kernarg_segment_size: 80
    .max_flat_workgroup_size: 128
    .name:           matmul_kernel_persistent
    .private_segment_fixed_size: 16
    .sgpr_count:     42
    .sgpr_spill_count: 0
    .symbol:         matmul_kernel_persistent.kd
    .uniform_work_group_size: 1
    .uses_dynamic_stack: false
    .vgpr_count:     256
    .vgpr_spill_count: 3
    .wavefront_size: 32
    .workgroup_processor_mode: 1
amdhsa.target:   amdgcn-amd-amdhsa--gfx1100
amdhsa.version:
  - 1
  - 2
...

	.end_amdgpu_metadata
	.section	.debug_line,"",@progbits
.Lline_table_start0:
